;; amdgpu-corpus repo=ROCm/rocFFT kind=compiled arch=gfx950 opt=O3
	.text
	.amdgcn_target "amdgcn-amd-amdhsa--gfx950"
	.amdhsa_code_object_version 6
	.protected	fft_rtc_back_len272_factors_16_17_wgs_119_tpt_17_halfLds_sp_op_CI_CI_sbrr_dirReg ; -- Begin function fft_rtc_back_len272_factors_16_17_wgs_119_tpt_17_halfLds_sp_op_CI_CI_sbrr_dirReg
	.globl	fft_rtc_back_len272_factors_16_17_wgs_119_tpt_17_halfLds_sp_op_CI_CI_sbrr_dirReg
	.p2align	8
	.type	fft_rtc_back_len272_factors_16_17_wgs_119_tpt_17_halfLds_sp_op_CI_CI_sbrr_dirReg,@function
fft_rtc_back_len272_factors_16_17_wgs_119_tpt_17_halfLds_sp_op_CI_CI_sbrr_dirReg: ; @fft_rtc_back_len272_factors_16_17_wgs_119_tpt_17_halfLds_sp_op_CI_CI_sbrr_dirReg
; %bb.0:
	s_load_dwordx4 s[12:15], s[0:1], 0x18
	s_load_dwordx4 s[8:11], s[0:1], 0x0
	;; [unrolled: 1-line block ×3, first 2 shown]
	v_mul_u32_u24_e32 v1, 0xf10, v0
	v_lshrrev_b32_e32 v2, 16, v1
	s_waitcnt lgkmcnt(0)
	s_load_dwordx2 s[18:19], s[12:13], 0x0
	s_load_dwordx2 s[16:17], s[14:15], 0x0
	v_mad_u64_u32 v[6:7], s[2:3], s2, 7, v[2:3]
	v_mov_b32_e32 v10, 0
	v_mov_b32_e32 v7, v10
	v_cmp_lt_u64_e64 s[2:3], s[10:11], 2
	v_mov_b64_e32 v[8:9], 0
	s_and_b64 vcc, exec, s[2:3]
	v_mov_b64_e32 v[2:3], v[8:9]
	v_mov_b64_e32 v[4:5], v[6:7]
	s_cbranch_vccnz .LBB0_8
; %bb.1:
	s_load_dwordx2 s[2:3], s[0:1], 0x10
	s_add_u32 s20, s14, 8
	s_addc_u32 s21, s15, 0
	s_add_u32 s22, s12, 8
	s_addc_u32 s23, s13, 0
	s_waitcnt lgkmcnt(0)
	s_add_u32 s24, s2, 8
	v_mov_b64_e32 v[8:9], 0
	s_addc_u32 s25, s3, 0
	s_mov_b64 s[26:27], 1
	v_mov_b64_e32 v[2:3], v[8:9]
	v_mov_b64_e32 v[12:13], v[6:7]
.LBB0_2:                                ; =>This Inner Loop Header: Depth=1
	s_load_dwordx2 s[28:29], s[24:25], 0x0
                                        ; implicit-def: $vgpr4_vgpr5
	s_waitcnt lgkmcnt(0)
	v_or_b32_e32 v11, s29, v13
	v_cmp_ne_u64_e32 vcc, 0, v[10:11]
	s_and_saveexec_b64 s[2:3], vcc
	s_xor_b64 s[30:31], exec, s[2:3]
	s_cbranch_execz .LBB0_4
; %bb.3:                                ;   in Loop: Header=BB0_2 Depth=1
	v_cvt_f32_u32_e32 v1, s28
	v_cvt_f32_u32_e32 v4, s29
	s_sub_u32 s2, 0, s28
	s_subb_u32 s3, 0, s29
	v_fmac_f32_e32 v1, 0x4f800000, v4
	v_rcp_f32_e32 v1, v1
	s_nop 0
	v_mul_f32_e32 v1, 0x5f7ffffc, v1
	v_mul_f32_e32 v4, 0x2f800000, v1
	v_trunc_f32_e32 v4, v4
	v_fmac_f32_e32 v1, 0xcf800000, v4
	v_cvt_u32_f32_e32 v7, v4
	v_cvt_u32_f32_e32 v1, v1
	v_mul_lo_u32 v4, s2, v7
	v_mul_hi_u32 v11, s2, v1
	v_mul_lo_u32 v5, s3, v1
	v_add_u32_e32 v11, v11, v4
	v_mul_lo_u32 v16, s2, v1
	v_add_u32_e32 v11, v11, v5
	v_mul_hi_u32 v4, v1, v16
	v_mul_hi_u32 v15, v1, v11
	v_mul_lo_u32 v14, v1, v11
	v_mov_b32_e32 v5, v10
	v_lshl_add_u64 v[4:5], v[4:5], 0, v[14:15]
	v_mul_hi_u32 v15, v7, v16
	v_mul_lo_u32 v16, v7, v16
	v_add_co_u32_e32 v4, vcc, v4, v16
	v_mul_hi_u32 v14, v7, v11
	s_nop 0
	v_addc_co_u32_e32 v4, vcc, v5, v15, vcc
	v_mov_b32_e32 v5, v10
	s_nop 0
	v_addc_co_u32_e32 v15, vcc, 0, v14, vcc
	v_mul_lo_u32 v14, v7, v11
	v_lshl_add_u64 v[4:5], v[4:5], 0, v[14:15]
	v_add_co_u32_e32 v1, vcc, v1, v4
	v_mul_lo_u32 v14, s2, v1
	s_nop 0
	v_addc_co_u32_e32 v7, vcc, v7, v5, vcc
	v_mul_lo_u32 v4, s2, v7
	v_mul_hi_u32 v5, s2, v1
	v_add_u32_e32 v4, v5, v4
	v_mul_lo_u32 v5, s3, v1
	v_add_u32_e32 v11, v4, v5
	v_mul_hi_u32 v17, v7, v14
	v_mul_lo_u32 v18, v7, v14
	v_mul_hi_u32 v5, v1, v11
	v_mul_lo_u32 v4, v1, v11
	v_mul_hi_u32 v14, v1, v14
	v_mov_b32_e32 v15, v10
	v_lshl_add_u64 v[4:5], v[14:15], 0, v[4:5]
	v_add_co_u32_e32 v4, vcc, v4, v18
	v_mul_hi_u32 v16, v7, v11
	s_nop 0
	v_addc_co_u32_e32 v4, vcc, v5, v17, vcc
	v_mul_lo_u32 v14, v7, v11
	s_nop 0
	v_addc_co_u32_e32 v15, vcc, 0, v16, vcc
	v_mov_b32_e32 v5, v10
	v_lshl_add_u64 v[4:5], v[4:5], 0, v[14:15]
	v_add_co_u32_e32 v1, vcc, v1, v4
	v_mul_hi_u32 v14, v12, v1
	s_nop 0
	v_addc_co_u32_e32 v7, vcc, v7, v5, vcc
	v_mad_u64_u32 v[4:5], s[2:3], v12, v7, 0
	v_mov_b32_e32 v15, v10
	v_lshl_add_u64 v[4:5], v[14:15], 0, v[4:5]
	v_mad_u64_u32 v[16:17], s[2:3], v13, v1, 0
	v_add_co_u32_e32 v1, vcc, v4, v16
	v_mad_u64_u32 v[14:15], s[2:3], v13, v7, 0
	s_nop 0
	v_addc_co_u32_e32 v4, vcc, v5, v17, vcc
	v_mov_b32_e32 v5, v10
	s_nop 0
	v_addc_co_u32_e32 v15, vcc, 0, v15, vcc
	v_lshl_add_u64 v[4:5], v[4:5], 0, v[14:15]
	v_mul_lo_u32 v1, s29, v4
	v_mul_lo_u32 v7, s28, v5
	v_mad_u64_u32 v[14:15], s[2:3], s28, v4, 0
	v_add3_u32 v1, v15, v7, v1
	v_sub_u32_e32 v7, v13, v1
	v_mov_b32_e32 v11, s29
	v_sub_co_u32_e32 v18, vcc, v12, v14
	v_lshl_add_u64 v[16:17], v[4:5], 0, 1
	s_nop 0
	v_subb_co_u32_e64 v7, s[2:3], v7, v11, vcc
	v_subrev_co_u32_e64 v11, s[2:3], s28, v18
	v_subb_co_u32_e32 v1, vcc, v13, v1, vcc
	s_nop 0
	v_subbrev_co_u32_e64 v7, s[2:3], 0, v7, s[2:3]
	v_cmp_le_u32_e64 s[2:3], s29, v7
	v_cmp_le_u32_e32 vcc, s29, v1
	s_nop 0
	v_cndmask_b32_e64 v14, 0, -1, s[2:3]
	v_cmp_le_u32_e64 s[2:3], s28, v11
	s_nop 1
	v_cndmask_b32_e64 v11, 0, -1, s[2:3]
	v_cmp_eq_u32_e64 s[2:3], s29, v7
	s_nop 1
	v_cndmask_b32_e64 v7, v14, v11, s[2:3]
	v_lshl_add_u64 v[14:15], v[4:5], 0, 2
	v_cmp_ne_u32_e64 s[2:3], 0, v7
	v_cndmask_b32_e64 v11, 0, -1, vcc
	v_cmp_le_u32_e32 vcc, s28, v18
	v_cndmask_b32_e64 v7, v17, v15, s[2:3]
	s_nop 0
	v_cndmask_b32_e64 v15, 0, -1, vcc
	v_cmp_eq_u32_e32 vcc, s29, v1
	s_nop 1
	v_cndmask_b32_e32 v1, v11, v15, vcc
	v_cmp_ne_u32_e32 vcc, 0, v1
	v_cndmask_b32_e64 v1, v16, v14, s[2:3]
	s_nop 0
	v_cndmask_b32_e32 v5, v5, v7, vcc
	v_cndmask_b32_e32 v4, v4, v1, vcc
.LBB0_4:                                ;   in Loop: Header=BB0_2 Depth=1
	s_andn2_saveexec_b64 s[2:3], s[30:31]
	s_cbranch_execz .LBB0_6
; %bb.5:                                ;   in Loop: Header=BB0_2 Depth=1
	v_cvt_f32_u32_e32 v1, s28
	s_sub_i32 s30, 0, s28
	v_rcp_iflag_f32_e32 v1, v1
	s_nop 0
	v_mul_f32_e32 v1, 0x4f7ffffe, v1
	v_cvt_u32_f32_e32 v1, v1
	v_mul_lo_u32 v4, s30, v1
	v_mul_hi_u32 v4, v1, v4
	v_add_u32_e32 v1, v1, v4
	v_mul_hi_u32 v1, v12, v1
	v_mul_lo_u32 v4, v1, s28
	v_sub_u32_e32 v4, v12, v4
	v_add_u32_e32 v5, 1, v1
	v_subrev_u32_e32 v7, s28, v4
	v_cmp_le_u32_e32 vcc, s28, v4
	s_nop 1
	v_cndmask_b32_e32 v4, v4, v7, vcc
	v_cndmask_b32_e32 v1, v1, v5, vcc
	v_add_u32_e32 v5, 1, v1
	v_cmp_le_u32_e32 vcc, s28, v4
	s_nop 1
	v_cndmask_b32_e32 v4, v1, v5, vcc
	v_mov_b32_e32 v5, v10
.LBB0_6:                                ;   in Loop: Header=BB0_2 Depth=1
	s_or_b64 exec, exec, s[2:3]
	v_mad_u64_u32 v[14:15], s[2:3], v4, s28, 0
	s_load_dwordx2 s[2:3], s[22:23], 0x0
	s_add_u32 s26, s26, 1
	v_mul_lo_u32 v1, v5, s28
	v_mul_lo_u32 v7, v4, s29
	s_load_dwordx2 s[28:29], s[20:21], 0x0
	s_addc_u32 s27, s27, 0
	v_add3_u32 v1, v15, v7, v1
	v_sub_co_u32_e32 v7, vcc, v12, v14
	s_add_u32 s20, s20, 8
	s_nop 0
	v_subb_co_u32_e32 v1, vcc, v13, v1, vcc
	s_addc_u32 s21, s21, 0
	s_waitcnt lgkmcnt(0)
	v_mul_lo_u32 v11, s2, v1
	v_mul_lo_u32 v12, s3, v7
	v_mad_u64_u32 v[8:9], s[2:3], s2, v7, v[8:9]
	s_add_u32 s22, s22, 8
	v_add3_u32 v9, v12, v9, v11
	s_addc_u32 s23, s23, 0
	v_mov_b64_e32 v[12:13], s[10:11]
	v_mul_lo_u32 v1, s28, v1
	v_mul_lo_u32 v11, s29, v7
	v_mad_u64_u32 v[2:3], s[2:3], s28, v7, v[2:3]
	s_add_u32 s24, s24, 8
	v_cmp_ge_u64_e32 vcc, s[26:27], v[12:13]
	v_add3_u32 v3, v11, v3, v1
	s_addc_u32 s25, s25, 0
	s_cbranch_vccnz .LBB0_8
; %bb.7:                                ;   in Loop: Header=BB0_2 Depth=1
	v_mov_b64_e32 v[12:13], v[4:5]
	s_branch .LBB0_2
.LBB0_8:
	s_load_dwordx2 s[0:1], s[0:1], 0x28
	s_lshl_b64 s[10:11], s[10:11], 3
	s_add_u32 s2, s14, s10
	s_addc_u32 s3, s15, s11
                                        ; implicit-def: $sgpr14_sgpr15
                                        ; implicit-def: $vgpr68
	s_waitcnt lgkmcnt(0)
	v_cmp_gt_u64_e32 vcc, s[0:1], v[4:5]
	v_cmp_le_u64_e64 s[0:1], s[0:1], v[4:5]
	s_and_saveexec_b64 s[20:21], s[0:1]
	s_xor_b64 s[0:1], exec, s[20:21]
; %bb.9:
	s_mov_b32 s14, 0xf0f0f10
	v_mul_hi_u32 v1, v0, s14
	v_mul_u32_u24_e32 v1, 17, v1
	v_sub_u32_e32 v68, v0, v1
	s_mov_b64 s[14:15], 0
                                        ; implicit-def: $vgpr0
                                        ; implicit-def: $vgpr8_vgpr9
; %bb.10:
	s_or_saveexec_b64 s[0:1], s[0:1]
	v_mov_b64_e32 v[10:11], s[14:15]
	v_mov_b64_e32 v[14:15], s[14:15]
	;; [unrolled: 1-line block ×8, first 2 shown]
                                        ; implicit-def: $vgpr30
                                        ; implicit-def: $vgpr32
                                        ; implicit-def: $vgpr34
                                        ; implicit-def: $vgpr28
                                        ; implicit-def: $vgpr37
                                        ; implicit-def: $vgpr41
                                        ; implicit-def: $vgpr7
                                        ; implicit-def: $vgpr1
                                        ; implicit-def: $vgpr42
                                        ; implicit-def: $vgpr38
	s_xor_b64 exec, exec, s[0:1]
	s_cbranch_execz .LBB0_12
; %bb.11:
	s_add_u32 s10, s12, s10
	s_addc_u32 s11, s13, s11
	s_load_dwordx2 s[10:11], s[10:11], 0x0
	s_mov_b32 s12, 0xf0f0f10
	s_waitcnt lgkmcnt(0)
	v_mul_lo_u32 v1, s11, v4
	v_mul_lo_u32 v7, s10, v5
	v_mad_u64_u32 v[10:11], s[10:11], s10, v4, 0
	v_add3_u32 v11, v11, v7, v1
	v_mul_hi_u32 v1, v0, s12
	v_mul_u32_u24_e32 v1, 17, v1
	v_sub_u32_e32 v68, v0, v1
	v_mad_u64_u32 v[0:1], s[10:11], s18, v68, 0
	v_mov_b32_e32 v12, v1
	v_lshl_add_u64 v[10:11], v[10:11], 3, s[4:5]
	v_add_u32_e32 v7, 17, v68
	v_mad_u64_u32 v[12:13], s[10:11], s19, v68, v[12:13]
	v_lshl_add_u64 v[8:9], v[8:9], 3, v[10:11]
	v_mad_u64_u32 v[10:11], s[4:5], s18, v7, 0
	v_mov_b32_e32 v1, v12
	v_mov_b32_e32 v12, v11
	v_mad_u64_u32 v[12:13], s[4:5], s19, v7, v[12:13]
	v_mov_b32_e32 v11, v12
	v_add_u32_e32 v7, 34, v68
	v_lshl_add_u64 v[12:13], v[10:11], 3, v[8:9]
	v_mad_u64_u32 v[10:11], s[4:5], s18, v7, 0
	v_mov_b32_e32 v14, v11
	v_mad_u64_u32 v[14:15], s[4:5], s19, v7, v[14:15]
	v_mov_b32_e32 v11, v14
	v_add_u32_e32 v7, 51, v68
	v_lshl_add_u64 v[14:15], v[10:11], 3, v[8:9]
	v_mad_u64_u32 v[10:11], s[4:5], s18, v7, 0
	v_mov_b32_e32 v16, v11
	v_mad_u64_u32 v[16:17], s[4:5], s19, v7, v[16:17]
	v_lshl_add_u64 v[0:1], v[0:1], 3, v[8:9]
	v_mov_b32_e32 v11, v16
	v_add_u32_e32 v7, 0x44, v68
	v_lshl_add_u64 v[22:23], v[10:11], 3, v[8:9]
	global_load_dwordx2 v[10:11], v[0:1], off
	global_load_dwordx2 v[18:19], v[12:13], off
	;; [unrolled: 1-line block ×4, first 2 shown]
	v_mad_u64_u32 v[0:1], s[4:5], s18, v7, 0
	v_mov_b32_e32 v12, v1
	v_mad_u64_u32 v[12:13], s[4:5], s19, v7, v[12:13]
	v_add_u32_e32 v7, 0x55, v68
	v_mov_b32_e32 v1, v12
	v_mad_u64_u32 v[12:13], s[4:5], s18, v7, 0
	v_mov_b32_e32 v14, v13
	v_mad_u64_u32 v[14:15], s[4:5], s19, v7, v[14:15]
	v_mov_b32_e32 v13, v14
	v_add_u32_e32 v7, 0x66, v68
	v_lshl_add_u64 v[26:27], v[12:13], 3, v[8:9]
	v_mad_u64_u32 v[12:13], s[4:5], s18, v7, 0
	v_mov_b32_e32 v14, v13
	v_mad_u64_u32 v[14:15], s[4:5], s19, v7, v[14:15]
	v_mov_b32_e32 v13, v14
	v_add_u32_e32 v7, 0x77, v68
	v_lshl_add_u64 v[28:29], v[12:13], 3, v[8:9]
	v_mad_u64_u32 v[12:13], s[4:5], s18, v7, 0
	v_mov_b32_e32 v14, v13
	v_mad_u64_u32 v[14:15], s[4:5], s19, v7, v[14:15]
	v_lshl_add_u64 v[0:1], v[0:1], 3, v[8:9]
	v_mov_b32_e32 v13, v14
	v_add_u32_e32 v7, 0x88, v68
	v_lshl_add_u64 v[30:31], v[12:13], 3, v[8:9]
	global_load_dwordx2 v[14:15], v[0:1], off
	global_load_dwordx2 v[12:13], v[26:27], off
	;; [unrolled: 1-line block ×4, first 2 shown]
	v_mad_u64_u32 v[0:1], s[4:5], s18, v7, 0
	v_mov_b32_e32 v26, v1
	v_mad_u64_u32 v[26:27], s[4:5], s19, v7, v[26:27]
	v_add_u32_e32 v7, 0x99, v68
	v_mov_b32_e32 v1, v26
	v_mad_u64_u32 v[26:27], s[4:5], s18, v7, 0
	v_mov_b32_e32 v28, v27
	v_mad_u64_u32 v[28:29], s[4:5], s19, v7, v[28:29]
	v_add_u32_e32 v7, 0xaa, v68
	v_mov_b32_e32 v27, v28
	v_mad_u64_u32 v[28:29], s[4:5], s18, v7, 0
	v_mov_b32_e32 v30, v29
	v_mad_u64_u32 v[30:31], s[4:5], s19, v7, v[30:31]
	v_mov_b32_e32 v29, v30
	v_add_u32_e32 v7, 0xbb, v68
	v_lshl_add_u64 v[36:37], v[28:29], 3, v[8:9]
	v_mad_u64_u32 v[28:29], s[4:5], s18, v7, 0
	v_mov_b32_e32 v30, v29
	v_mad_u64_u32 v[30:31], s[4:5], s19, v7, v[30:31]
	v_lshl_add_u64 v[0:1], v[0:1], 3, v[8:9]
	v_mov_b32_e32 v29, v30
	v_add_u32_e32 v7, 0xcc, v68
	v_lshl_add_u64 v[26:27], v[26:27], 3, v[8:9]
	v_lshl_add_u64 v[38:39], v[28:29], 3, v[8:9]
	global_load_dwordx2 v[30:31], v[0:1], off
	global_load_dwordx2 v[32:33], v[26:27], off
	;; [unrolled: 1-line block ×4, first 2 shown]
	v_mad_u64_u32 v[0:1], s[4:5], s18, v7, 0
	v_mov_b32_e32 v26, v1
	v_mad_u64_u32 v[26:27], s[4:5], s19, v7, v[26:27]
	v_mov_b32_e32 v1, v26
	v_add_u32_e32 v7, 0xdd, v68
	v_lshl_add_u64 v[26:27], v[0:1], 3, v[8:9]
	v_mad_u64_u32 v[0:1], s[4:5], s18, v7, 0
	v_mov_b32_e32 v36, v1
	v_mad_u64_u32 v[36:37], s[4:5], s19, v7, v[36:37]
	v_mov_b32_e32 v1, v36
	v_add_u32_e32 v7, 0xee, v68
	v_lshl_add_u64 v[36:37], v[0:1], 3, v[8:9]
	v_mad_u64_u32 v[0:1], s[4:5], s18, v7, 0
	v_mov_b32_e32 v38, v1
	v_mad_u64_u32 v[38:39], s[4:5], s19, v7, v[38:39]
	v_mov_b32_e32 v1, v38
	v_add_u32_e32 v7, 0xff, v68
	v_lshl_add_u64 v[44:45], v[0:1], 3, v[8:9]
	v_mad_u64_u32 v[0:1], s[4:5], s18, v7, 0
	v_mov_b32_e32 v38, v1
	v_mad_u64_u32 v[38:39], s[4:5], s19, v7, v[38:39]
	v_mov_b32_e32 v1, v38
	v_lshl_add_u64 v[8:9], v[0:1], 3, v[8:9]
	global_load_dwordx2 v[40:41], v[26:27], off
	global_load_dwordx2 v[0:1], v[36:37], off
	;; [unrolled: 1-line block ×4, first 2 shown]
	s_waitcnt vmcnt(3)
	v_mov_b32_e32 v37, v40
	s_waitcnt vmcnt(2)
	v_mov_b32_e32 v7, v0
.LBB0_12:
	s_or_b64 exec, exec, s[0:1]
	s_mov_b32 s0, 0x24924925
	v_mul_hi_u32 v0, v6, s0
	v_sub_u32_e32 v8, v6, v0
	v_lshrrev_b32_e32 v8, 1, v8
	v_add_u32_e32 v0, v8, v0
	v_lshrrev_b32_e32 v0, 2, v0
	v_mul_lo_u32 v0, v0, 7
	v_sub_f32_e32 v9, v21, v35
	v_sub_u32_e32 v0, v6, v0
	v_sub_f32_e32 v27, v11, v31
	v_sub_f32_e32 v6, v20, v34
	v_fma_f32 v58, v21, 2.0, -v9
	s_waitcnt vmcnt(1)
	v_sub_f32_e32 v31, v22, v42
	v_sub_f32_e32 v21, v19, v33
	;; [unrolled: 1-line block ×3, first 2 shown]
	s_waitcnt vmcnt(0)
	v_sub_f32_e32 v39, v25, v39
	v_fma_f32 v26, v11, 2.0, -v27
	v_fma_f32 v11, v20, 2.0, -v6
	;; [unrolled: 1-line block ×6, first 2 shown]
	v_sub_f32_e32 v19, v16, v28
	v_sub_f32_e32 v28, v11, v35
	;; [unrolled: 1-line block ×4, first 2 shown]
	v_fma_f32 v36, v16, 2.0, -v19
	v_fma_f32 v16, v11, 2.0, -v28
	v_sub_f32_e32 v11, v9, v31
	v_fma_f32 v54, v17, 2.0, -v46
	v_add_f32_e32 v17, v19, v39
	v_mul_u32_u24_e32 v61, 0x110, v0
	v_sub_f32_e32 v0, v18, v32
	v_add_f32_e32 v18, v18, v18
	v_sub_f32_e32 v38, v24, v38
	v_add_f32_e32 v29, v6, v34
	v_fma_f32 v9, v9, 2.0, -v11
	v_fma_f32 v43, v19, 2.0, -v17
	v_mov_b32_e32 v19, v13
	v_add_f32_e32 v8, v10, v10
	v_fma_f32 v23, v23, 2.0, -v34
	v_fma_f32 v24, v24, 2.0, -v38
	;; [unrolled: 1-line block ×3, first 2 shown]
	v_mul_f32_e32 v35, 0x3f3504f3, v9
	v_sub_f32_e32 v40, v10, v30
	v_mov_b32_e32 v9, v15
	v_pk_add_f32 v[18:19], v[18:19], v[0:1] neg_lo:[0,1] neg_hi:[0,1]
	v_add_f32_e32 v22, v13, v13
	v_sub_f32_e32 v32, v58, v23
	v_sub_f32_e32 v24, v36, v24
	v_mul_f32_e32 v52, 0x3f3504f3, v6
	v_pk_add_f32 v[8:9], v[8:9], v[40:41] neg_lo:[0,1] neg_hi:[0,1]
	v_mov_b32_e32 v23, v12
	v_mov_b32_e32 v6, v19
	v_add_f32_e32 v44, v15, v15
	v_fma_f32 v31, v36, 2.0, -v24
	v_sub_f32_e32 v34, v33, v38
	v_mov_b32_e32 v45, v14
	v_mov_b32_e32 v36, v9
	v_pk_add_f32 v[6:7], v[22:23], v[6:7] neg_lo:[0,1] neg_hi:[0,1]
	v_fma_f32 v48, v33, 2.0, -v34
	v_mul_f32_e32 v33, 0x3f3504f3, v11
	v_pk_add_f32 v[10:11], v[44:45], v[36:37] neg_lo:[0,1] neg_hi:[0,1]
	v_fma_f32 v12, v12, 2.0, -v7
	v_mov_b32_e32 v13, v0
	v_fma_f32 v14, v14, 2.0, -v11
	v_mov_b32_e32 v15, v40
	v_pk_add_f32 v[38:39], v[26:27], v[10:11] neg_lo:[0,1] neg_hi:[0,1]
	v_pk_add_f32 v[10:11], v[18:19], v[12:13] neg_lo:[0,1] neg_hi:[0,1]
	v_pk_add_f32 v[12:13], v[18:19], v[12:13]
	v_pk_add_f32 v[6:7], v[20:21], v[6:7] neg_lo:[0,1] neg_hi:[0,1]
	v_add_f32_e32 v22, v8, v8
	v_pk_add_f32 v[36:37], v[8:9], v[14:15] neg_lo:[0,1] neg_hi:[0,1]
	v_pk_add_f32 v[8:9], v[8:9], v[14:15]
	v_fma_f32 v12, v18, 2.0, -v10
	v_fma_f32 v14, v0, 2.0, -v13
	;; [unrolled: 1-line block ×4, first 2 shown]
	v_sub_f32_e32 v40, v12, v31
	v_fmamk_f32 v41, v43, 0xbf3504f3, v14
	v_fmamk_f32 v59, v48, 0xbf3504f3, v15
	v_mul_f32_e32 v47, 0x3f3504f3, v34
	v_mov_b32_e32 v37, v9
	v_mov_b32_e32 v11, v13
	v_fma_f32 v42, v20, 2.0, -v6
	v_fmac_f32_e32 v9, 0x3f3504f3, v29
	v_mov_b32_e32 v8, v36
	v_fma_f32 v20, v12, 2.0, -v40
	v_fmac_f32_e32 v41, 0x3f3504f3, v48
	v_fmac_f32_e32 v59, 0xbf3504f3, v43
	v_fmac_f32_e32 v13, 0x3f3504f3, v17
	v_mov_b32_e32 v12, v10
	s_mov_b32 s4, 0x3f3504f3
	v_mul_f32_e32 v25, 0x3f3504f3, v17
	v_pk_add_f32 v[18:19], v[8:9], v[32:33]
	v_fma_f32 v8, v14, 2.0, -v41
	v_fma_f32 v60, v15, 2.0, -v59
	v_fmamk_f32 v15, v34, 0x3f3504f3, v7
	v_pk_add_f32 v[44:45], v[12:13], v[46:47]
	v_mov_b32_e32 v14, v6
	s_mov_b32 s5, 0x3ec3ef15
	v_pk_add_f32 v[46:47], v[14:15], v[24:25] neg_lo:[0,1] neg_hi:[0,1]
	v_pk_fma_f32 v[10:11], v[10:11], 2.0, v[44:45] op_sel_hi:[1,0,1] neg_lo:[0,0,1] neg_hi:[0,0,1]
	s_mov_b32 s1, 0x3f6c835e
	s_mov_b32 s0, s4
	v_pk_fma_f32 v[6:7], v[6:7], 2.0, v[46:47] op_sel_hi:[1,0,1] neg_lo:[0,0,1] neg_hi:[0,0,1]
	v_pk_mul_f32 v[50:51], v[10:11], s[0:1]
	v_pk_fma_f32 v[0:1], v[36:37], 2.0, v[18:19] op_sel_hi:[1,0,1] neg_lo:[0,0,1] neg_hi:[0,0,1]
	v_pk_mul_f32 v[48:49], v[6:7], s[4:5]
	v_mul_f32_e32 v11, 0x3ec3ef15, v11
	v_mov_b32_e32 v10, v50
	v_pk_add_f32 v[10:11], v[0:1], v[10:11] neg_lo:[0,1] neg_hi:[0,1]
	v_mul_f32_e32 v7, 0x3f6c835e, v7
	v_mov_b32_e32 v6, v48
	v_mov_b32_e32 v37, v52
	v_pk_add_f32 v[6:7], v[6:7], v[10:11]
	v_pk_add_f32 v[10:11], v[22:23], v[36:37] neg_lo:[0,1] neg_hi:[0,1]
	v_mov_b32_e32 v34, v38
	v_mov_b32_e32 v17, v35
	v_pk_add_f32 v[14:15], v[10:11], v[34:35]
	v_mul_f32_e32 v55, 0x3ec3ef15, v41
	v_pk_add_f32 v[24:25], v[10:11], v[16:17] neg_lo:[0,1] neg_hi:[0,1]
	v_mov_b32_e32 v43, v15
	v_mov_b32_e32 v25, v15
	v_pk_add_f32 v[52:53], v[42:43], v[54:55] neg_lo:[0,1] neg_hi:[0,1]
	v_pk_add_f32 v[14:15], v[14:15], v[54:55]
	v_pk_fma_f32 v[12:13], v[0:1], 2.0, v[6:7] op_sel_hi:[1,0,1] neg_lo:[0,0,1] neg_hi:[0,0,1]
	v_mul_f32_e32 v1, 0x3f6c835e, v59
	v_mov_b32_e32 v53, v15
	v_mov_b32_e32 v0, v24
	v_mov_b32_e32 v9, v44
	s_mov_b32 s0, s5
	s_mov_b32 s1, s4
	v_mov_b32_e32 v11, v23
	s_load_dwordx2 s[2:3], s[2:3], 0x0
	v_pk_add_f32 v[14:15], v[0:1], v[52:53]
	v_pk_mul_f32 v[54:55], v[8:9], s[0:1]
	v_pk_fma_f32 v[0:1], v[10:11], 2.0, v[24:25] op_sel_hi:[1,0,1] neg_lo:[0,0,1] neg_hi:[0,0,1]
	v_mul_f32_e32 v21, 0x3ec3ef15, v60
	v_mul_f32_e32 v57, 0x3f6c835e, v45
	v_fmamk_f32 v11, v8, 0xbf6c835e, v1
	v_mov_b32_e32 v10, v0
	v_mov_b32_e32 v56, v55
	v_pk_add_f32 v[8:9], v[10:11], v[20:21] neg_lo:[0,1] neg_hi:[0,1]
	v_pk_add_f32 v[10:11], v[10:11], v[20:21]
	v_pk_add_f32 v[20:21], v[18:19], v[56:57]
	v_lshl_add_u32 v30, v68, 6, 0
	v_mov_b32_e32 v9, v11
	v_pk_fma_f32 v[20:21], v[46:47], s[4:5], v[20:21]
	v_pk_fma_f32 v[16:17], v[24:25], 2.0, v[14:15] op_sel_hi:[1,0,1] neg_lo:[0,0,1] neg_hi:[0,0,1]
	v_lshl_add_u32 v44, v61, 2, v30
	v_pk_fma_f32 v[0:1], v[0:1], 2.0, v[8:9] op_sel_hi:[1,0,1] neg_lo:[0,0,1] neg_hi:[0,0,1]
	v_pk_fma_f32 v[18:19], v[18:19], 2.0, v[20:21] op_sel_hi:[1,0,1] neg_lo:[0,0,1] neg_hi:[0,0,1]
	v_cmp_lt_u32_e64 s[0:1], 15, v68
	ds_write2_b64 v44, v[0:1], v[12:13] offset1:1
	ds_write2_b64 v44, v[16:17], v[18:19] offset0:2 offset1:3
	ds_write2_b64 v44, v[8:9], v[6:7] offset0:4 offset1:5
	;; [unrolled: 1-line block ×3, first 2 shown]
	s_waitcnt lgkmcnt(0)
	s_barrier
	s_waitcnt lgkmcnt(0)
                                        ; implicit-def: $vgpr24_vgpr25
                                        ; implicit-def: $vgpr22_vgpr23
	s_and_saveexec_b64 s[10:11], s[0:1]
	s_xor_b64 s[10:11], exec, s[10:11]
; %bb.13:
	v_mov_b64_e32 v[24:25], v[12:13]
	v_mov_b64_e32 v[22:23], v[16:17]
                                        ; implicit-def: $vgpr30
; %bb.14:
	s_or_saveexec_b64 s[10:11], s[10:11]
	v_mul_f32_e32 v29, 0x3f3504f3, v29
	v_pk_mul_f32 v[56:57], v[46:47], s[4:5]
	v_lshlrev_b32_e32 v9, 2, v61
	v_lshlrev_b32_e32 v10, 2, v68
                                        ; implicit-def: $vgpr31
	s_xor_b64 exec, exec, s[10:11]
	s_cbranch_execz .LBB0_16
; %bb.15:
	v_mul_i32_i24_e32 v1, 0xffffffc4, v68
	v_add3_u32 v0, 0, v9, v10
	v_add3_u32 v1, v30, v1, v9
	ds_read_b32 v0, v0
	ds_read2_b32 v[12:13], v1 offset0:16 offset1:32
	ds_read2_b32 v[62:63], v1 offset0:48 offset1:64
	;; [unrolled: 1-line block ×7, first 2 shown]
	v_add_u32_e32 v1, 0x200, v1
	ds_read2_b32 v[30:31], v1 offset0:112 offset1:128
	s_waitcnt lgkmcnt(6)
	v_mov_b32_e32 v22, v63
	s_waitcnt lgkmcnt(5)
	v_mov_b32_e32 v23, v64
	v_mov_b32_e32 v24, v13
	;; [unrolled: 1-line block ×5, first 2 shown]
	s_waitcnt lgkmcnt(4)
	v_mov_b32_e32 v19, v6
	v_mov_b32_e32 v8, v7
	s_waitcnt lgkmcnt(3)
	v_mov_b32_e32 v11, v14
	v_mov_b32_e32 v6, v15
	;; [unrolled: 3-line block ×5, first 2 shown]
	v_mov_b32_e32 v17, v64
	v_mov_b32_e32 v12, v13
	;; [unrolled: 1-line block ×3, first 2 shown]
.LBB0_16:
	s_or_b64 exec, exec, s[10:11]
	v_fma_f32 v36, v58, 2.0, -v32
	v_add_f32_e32 v33, v39, v33
	v_mov_b32_e32 v32, v38
	v_pk_add_f32 v[62:63], v[32:33], v[28:29] neg_lo:[0,1] neg_hi:[0,1]
	v_add_f32_e32 v26, v26, v26
	v_pk_fma_f32 v[32:33], v[38:39], 2.0, v[62:63] op_sel_hi:[1,0,1] neg_lo:[0,0,1] neg_hi:[0,0,1]
	v_fma_f32 v27, v27, 2.0, -v39
	v_pk_add_f32 v[28:29], v[32:33], v[48:49] neg_lo:[0,1] neg_hi:[0,1]
	v_mul_f32_e32 v41, 0x3f6c835e, v41
	v_pk_add_f32 v[28:29], v[28:29], v[50:51] neg_lo:[0,1] neg_hi:[0,1]
	v_add_f32_e32 v61, v42, v42
	v_pk_fma_f32 v[38:39], v[32:33], 2.0, v[28:29] op_sel_hi:[1,0,1] neg_lo:[0,0,1] neg_hi:[0,0,1]
	v_pk_add_f32 v[32:33], v[26:27], v[34:35] neg_lo:[0,1] neg_hi:[0,1]
	s_nop 0
	v_pk_add_f32 v[34:35], v[32:33], v[36:37] neg_lo:[0,1] neg_hi:[0,1]
	v_mov_b32_e32 v33, v27
	v_pk_fma_f32 v[48:49], v[32:33], 2.0, v[34:35] op_sel_hi:[1,0,1] neg_lo:[0,0,1] neg_hi:[0,0,1]
	v_fmamk_f32 v27, v59, 0x3ec3ef15, v35
	v_mov_b32_e32 v26, v34
	v_fmamk_f32 v32, v60, 0xbf6c835e, v49
	v_pk_add_f32 v[36:37], v[26:27], v[40:41] neg_lo:[0,1] neg_hi:[0,1]
	v_fmamk_f32 v60, v47, 0x3f6c835e, v63
	v_mul_f32_e32 v26, 0x3ec3ef15, v45
	v_mov_b32_e32 v27, v52
	v_pk_fma_f32 v[42:43], v[34:35], 2.0, v[36:37] op_sel_hi:[1,0,1] neg_lo:[0,0,1] neg_hi:[0,0,1]
	v_add_f32_e32 v34, v63, v63
	v_pk_add_f32 v[40:41], v[60:61], v[26:27] neg_lo:[0,1] neg_hi:[0,1]
	v_mov_b32_e32 v35, v48
	v_pk_add_f32 v[26:27], v[34:35], v[40:41] neg_lo:[0,1] neg_hi:[0,1]
	v_pk_add_f32 v[34:35], v[62:63], v[56:57]
	v_mov_b32_e32 v46, v27
	v_mov_b32_e32 v33, v34
	v_pk_add_f32 v[32:33], v[32:33], v[54:55] neg_lo:[0,1] neg_hi:[0,1]
	s_barrier
	v_mov_b32_e32 v47, v32
	v_fma_f32 v35, v62, 2.0, -v33
	v_pk_fma_f32 v[70:71], v[48:49], 2.0, v[46:47] op_sel_hi:[1,0,1] neg_lo:[0,0,1] neg_hi:[0,0,1]
	ds_write2_b64 v44, v[70:71], v[38:39] offset1:1
	ds_write_b64 v44, v[42:43] offset:16
	ds_write2_b32 v44, v26, v27 offset0:7 offset1:8
	ds_write2_b32 v44, v32, v28 offset0:9 offset1:10
	ds_write2_b32 v44, v29, v36 offset0:11 offset1:12
	v_mov_b32_e32 v30, v37
	v_mov_b32_e32 v41, v33
	ds_write2_b32 v44, v37, v33 offset0:13 offset1:14
	ds_write2_b32 v44, v35, v40 offset0:6 offset1:15
	s_waitcnt lgkmcnt(0)
	s_barrier
	s_waitcnt lgkmcnt(0)
                                        ; implicit-def: $vgpr46_vgpr47
                                        ; implicit-def: $vgpr44_vgpr45
	s_and_saveexec_b64 s[4:5], s[0:1]
	s_xor_b64 s[0:1], exec, s[4:5]
; %bb.17:
	v_mov_b64_e32 v[46:47], v[38:39]
	v_mov_b64_e32 v[44:45], v[42:43]
                                        ; implicit-def: $vgpr9
                                        ; implicit-def: $vgpr10
; %bb.18:
	s_andn2_saveexec_b64 s[0:1], s[0:1]
	s_cbranch_execz .LBB0_20
; %bb.19:
	v_add3_u32 v26, 0, v9, v10
	v_add3_u32 v9, 0, v10, v9
	ds_read_b32 v70, v26
	ds_read2_b32 v[38:39], v9 offset0:16 offset1:32
	ds_read2_b32 v[48:49], v9 offset0:48 offset1:64
	;; [unrolled: 1-line block ×7, first 2 shown]
	v_add_u32_e32 v9, 0x200, v9
	ds_read2_b32 v[40:41], v9 offset0:112 offset1:128
	s_waitcnt lgkmcnt(6)
	v_mov_b32_e32 v44, v49
	s_waitcnt lgkmcnt(5)
	v_mov_b32_e32 v45, v34
	v_mov_b32_e32 v46, v39
	;; [unrolled: 1-line block ×3, first 2 shown]
	s_waitcnt lgkmcnt(3)
	v_mov_b32_e32 v32, v28
	s_waitcnt lgkmcnt(1)
	v_mov_b32_e32 v33, v43
	v_mov_b32_e32 v28, v29
	v_mov_b32_e32 v29, v36
	v_mov_b32_e32 v36, v37
	v_mov_b32_e32 v37, v42
	v_mov_b32_e32 v71, v38
	v_mov_b32_e32 v42, v49
	v_mov_b32_e32 v43, v34
	v_mov_b32_e32 v38, v39
	v_mov_b32_e32 v39, v48
.LBB0_20:
	s_or_b64 exec, exec, s[0:1]
	v_cmp_gt_u32_e64 s[0:1], 16, v68
	s_and_b64 s[0:1], vcc, s[0:1]
	s_and_saveexec_b64 s[4:5], s[0:1]
	s_cbranch_execz .LBB0_22
; %bb.21:
	v_lshlrev_b32_e32 v9, 4, v68
	v_and_b32_e32 v9, 0xf0, v9
	v_lshlrev_b32_e32 v9, 3, v9
	global_load_dwordx4 v[52:55], v9, s[8:9] offset:112
	global_load_dwordx4 v[56:59], v9, s[8:9]
	global_load_dwordx4 v[64:67], v9, s[8:9] offset:16
	global_load_dwordx4 v[72:75], v9, s[8:9] offset:96
	;; [unrolled: 1-line block ×6, first 2 shown]
	v_mov_b32_e32 v60, v21
	v_mov_b32_e32 v86, v15
	v_mul_lo_u32 v15, s3, v4
	v_mul_lo_u32 v21, s2, v5
	v_mad_u64_u32 v[4:5], s[0:1], s2, v4, 0
	v_mad_u64_u32 v[48:49], s[0:1], s16, v68, 0
	v_add3_u32 v5, v5, v21, v15
	v_mov_b32_e32 v50, v49
	v_mad_u64_u32 v[50:51], s[0:1], s17, v68, v[50:51]
	v_lshl_add_u64 v[4:5], v[4:5], 3, s[6:7]
	v_mov_b32_e32 v49, v50
	v_lshl_add_u64 v[100:101], v[2:3], 3, v[4:5]
	v_lshl_add_u64 v[106:107], v[48:49], 3, v[100:101]
	s_waitcnt lgkmcnt(0)
	v_mov_b32_e32 v10, v41
	v_mov_b32_e32 v30, v37
	;; [unrolled: 1-line block ×4, first 2 shown]
	s_mov_b32 s18, 0x3f6eb680
	s_mov_b32 s19, 0xbeb8f4ab
	;; [unrolled: 1-line block ×48, first 2 shown]
	s_waitcnt vmcnt(7)
	v_pk_mul_f32 v[4:5], v[40:41], v[52:53] op_sel_hi:[0,1]
	s_waitcnt vmcnt(6)
	v_mul_f32_e32 v29, v71, v57
	s_waitcnt vmcnt(5)
	v_mul_f32_e32 v48, v39, v65
	v_mul_f32_e32 v9, v1, v57
	v_mul_f32_e32 v40, v38, v59
	v_mov_b32_e32 v91, v64
	v_fmac_f32_e32 v48, v13, v64
	v_mov_b32_e32 v64, v59
	v_pk_mul_f32 v[2:3], v[10:11], v[54:55] op_sel_hi:[0,1]
	v_mov_b32_e32 v90, v58
	s_waitcnt vmcnt(4)
	v_pk_mul_f32 v[108:109], v[30:31], v[72:73] op_sel_hi:[0,1]
	s_waitcnt vmcnt(3)
	v_mul_f32_e32 v30, v43, v77
	v_fmac_f32_e32 v40, v12, v58
	v_fmac_f32_e32 v29, v1, v56
	v_fma_f32 v1, v71, v56, -v9
	v_pk_mul_f32 v[12:13], v[24:25], v[64:65]
	v_mov_b32_e32 v111, v76
	s_waitcnt vmcnt(2)
	v_mul_f32_e32 v15, v19, v97
	s_waitcnt vmcnt(1)
	v_pk_mul_f32 v[36:37], v[36:37], v[82:83] op_sel_hi:[0,1]
	v_pk_fma_f32 v[112:113], v[34:35], v[54:55], v[2:3] op_sel:[0,0,1] op_sel_hi:[0,1,0]
	v_pk_fma_f32 v[114:115], v[34:35], v[54:55], v[2:3] op_sel:[0,0,1] op_sel_hi:[0,1,0] neg_lo:[1,0,0] neg_hi:[1,0,0]
	v_pk_fma_f32 v[94:95], v[60:61], v[52:53], v[4:5] op_sel:[0,0,1] op_sel_hi:[0,1,0]
	v_pk_fma_f32 v[62:63], v[60:61], v[52:53], v[4:5] op_sel:[0,0,1] op_sel_hi:[0,1,0] neg_lo:[1,0,0] neg_hi:[1,0,0]
	v_fmac_f32_e32 v30, v17, v76
	v_mov_b32_e32 v76, v67
	v_add_f32_e32 v2, v70, v1
	v_add_f32_e32 v4, v0, v29
	v_pk_fma_f32 v[24:25], v[46:47], v[90:91], v[12:13] neg_lo:[0,0,1] neg_hi:[0,0,1]
	v_mul_f32_e32 v50, v42, v67
	v_mov_b32_e32 v110, v66
	v_fma_f32 v39, v26, v96, -v15
	v_pk_fma_f32 v[56:57], v[14:15], v[82:83], v[36:37] op_sel:[0,0,1] op_sel_hi:[0,1,0]
	v_pk_fma_f32 v[54:55], v[14:15], v[82:83], v[36:37] op_sel:[0,0,1] op_sel_hi:[0,1,0] neg_lo:[1,0,0] neg_hi:[1,0,0]
	v_pk_mul_f32 v[14:15], v[22:23], v[76:77]
	v_add_f32_e32 v4, v4, v40
	v_add_f32_e32 v2, v2, v24
	v_pk_mul_f32 v[84:85], v[32:33], v[74:75] op_sel:[1,0]
	v_fmac_f32_e32 v50, v16, v66
	v_pk_fma_f32 v[60:61], v[44:45], v[110:111], v[14:15] neg_lo:[0,0,1] neg_hi:[0,0,1]
	v_add_f32_e32 v4, v4, v48
	v_add_f32_e32 v2, v2, v25
	v_mul_f32_e32 v10, v18, v79
	v_mul_f32_e32 v42, v35, v79
	v_pk_fma_f32 v[92:93], v[20:21], v[74:75], v[84:85] op_sel:[0,0,1] op_sel_hi:[0,1,0]
	v_pk_fma_f32 v[84:85], v[20:21], v[74:75], v[84:85] op_sel:[0,0,1] op_sel_hi:[0,1,0] neg_lo:[1,0,0] neg_hi:[1,0,0]
	v_add_f32_e32 v4, v4, v50
	v_add_f32_e32 v2, v2, v60
	s_waitcnt vmcnt(0)
	v_pk_mul_f32 v[20:21], v[28:29], v[104:105] op_sel_hi:[0,1]
	v_mul_f32_e32 v38, v26, v97
	v_fma_f32 v43, v35, v78, -v10
	v_fmac_f32_e32 v42, v18, v78
	v_add_f32_e32 v3, v1, v115
	v_add_f32_e32 v12, v4, v30
	;; [unrolled: 1-line block ×3, first 2 shown]
	v_pk_mul_f32 v[14:15], v[88:89], v[80:81] op_sel_hi:[0,1]
	v_mov_b32_e32 v2, v7
	v_pk_fma_f32 v[90:91], v[6:7], v[104:105], v[20:21] op_sel:[0,0,1] op_sel_hi:[0,1,0]
	v_pk_fma_f32 v[66:67], v[6:7], v[104:105], v[20:21] op_sel:[0,0,1] op_sel_hi:[0,1,0] neg_lo:[1,0,0] neg_hi:[1,0,0]
	v_mov_b32_e32 v20, v99
	v_mov_b32_e32 v21, v98
	v_pk_mul_f32 v[8:9], v[8:9], v[98:99] op_sel_hi:[0,1]
	v_pk_fma_f32 v[58:59], v[86:87], v[72:73], v[108:109] op_sel:[0,0,1] op_sel_hi:[0,1,0]
	v_pk_fma_f32 v[52:53], v[86:87], v[72:73], v[108:109] op_sel:[0,0,1] op_sel_hi:[0,1,0] neg_lo:[1,0,0] neg_hi:[1,0,0]
	v_fmac_f32_e32 v38, v19, v96
	v_pk_fma_f32 v[86:87], v[2:3], v[80:81], v[14:15] op_sel:[0,0,1] op_sel_hi:[0,1,0]
	v_pk_fma_f32 v[64:65], v[2:3], v[80:81], v[14:15] op_sel:[0,0,1] op_sel_hi:[0,1,0] neg_lo:[1,0,0] neg_hi:[1,0,0]
	v_pk_mul_f32 v[6:7], v[32:33], v[102:103] op_sel_hi:[0,1]
	v_mov_b32_e32 v2, v11
	v_pk_fma_f32 v[98:99], v[26:27], v[20:21], v[8:9] op_sel:[1,0,0]
	v_pk_fma_f32 v[96:97], v[26:27], v[20:21], v[8:9] op_sel:[1,0,0] neg_lo:[0,0,1] neg_hi:[0,0,1]
	v_pk_add_f32 v[12:13], v[12:13], v[42:43]
	v_pk_fma_f32 v[88:89], v[2:3], v[102:103], v[6:7] op_sel:[0,0,1] op_sel_hi:[0,1,0]
	v_pk_fma_f32 v[82:83], v[2:3], v[102:103], v[6:7] op_sel:[0,0,1] op_sel_hi:[0,1,0] neg_lo:[1,0,0] neg_hi:[1,0,0]
	v_mov_b32_e32 v20, v98
	v_mov_b32_e32 v21, v97
	v_pk_add_f32 v[12:13], v[12:13], v[38:39]
	v_mov_b32_e32 v8, v88
	v_mov_b32_e32 v9, v83
	v_pk_add_f32 v[12:13], v[12:13], v[20:21]
	;; [unrolled: 3-line block ×8, first 2 shown]
	v_mov_b32_e32 v113, v115
	v_pk_add_f32 v[6:7], v[16:17], v[6:7]
	v_sub_f32_e32 v2, v1, v115
	v_pk_add_f32 v[6:7], v[112:113], v[6:7]
	v_or_b32_e32 v1, 16, v68
	global_store_dwordx2 v[106:107], v[6:7], off
	v_mad_u64_u32 v[6:7], s[0:1], s16, v1, 0
	v_mov_b32_e32 v8, v7
	v_mad_u64_u32 v[8:9], s[0:1], s17, v1, v[8:9]
	v_or_b32_e32 v1, 32, v68
	v_mov_b32_e32 v7, v8
	v_mad_u64_u32 v[8:9], s[0:1], s16, v1, 0
	v_mov_b32_e32 v10, v9
	v_mad_u64_u32 v[10:11], s[0:1], s17, v1, v[10:11]
	v_or_b32_e32 v1, 48, v68
	v_mov_b32_e32 v9, v10
	;; [unrolled: 5-line block ×9, first 2 shown]
	v_mad_u64_u32 v[26:27], s[0:1], s16, v1, 0
	v_mov_b32_e32 v28, v27
	v_sub_f32_e32 v5, v29, v112
	v_add_f32_e32 v4, v29, v112
	v_mad_u64_u32 v[28:29], s[0:1], s17, v1, v[28:29]
	v_or_b32_e32 v1, 0xb0, v68
	v_mov_b32_e32 v27, v28
	v_mad_u64_u32 v[28:29], s[0:1], s16, v1, 0
	v_mov_b32_e32 v32, v29
	v_mad_u64_u32 v[32:33], s[0:1], s17, v1, v[32:33]
	v_or_b32_e32 v1, 0xc0, v68
	v_mov_b32_e32 v29, v32
	v_mad_u64_u32 v[32:33], s[0:1], s16, v1, 0
	v_mov_b32_e32 v34, v33
	v_mad_u64_u32 v[34:35], s[0:1], s17, v1, v[34:35]
	v_or_b32_e32 v1, 0xd0, v68
	v_mad_u64_u32 v[36:37], s[0:1], s16, v1, 0
	v_mov_b32_e32 v33, v34
	v_mov_b32_e32 v34, v37
	v_mad_u64_u32 v[34:35], s[0:1], s17, v1, v[34:35]
	v_or_b32_e32 v1, 0xe0, v68
	v_mad_u64_u32 v[44:45], s[0:1], s16, v1, 0
	v_mov_b32_e32 v37, v34
	v_mov_b32_e32 v34, v45
	v_mad_u64_u32 v[34:35], s[0:1], s17, v1, v[34:35]
	v_or_b32_e32 v1, 0xf0, v68
	v_mad_u64_u32 v[46:47], s[0:1], s16, v1, 0
	v_mov_b32_e32 v45, v34
	v_mov_b32_e32 v34, v47
	v_mad_u64_u32 v[34:35], s[0:1], s17, v1, v[34:35]
	v_or_b32_e32 v1, 0x100, v68
	v_mad_u64_u32 v[102:103], s[0:1], s16, v1, 0
	v_mov_b32_e32 v47, v34
	v_mov_b32_e32 v34, v103
	v_lshl_add_u64 v[80:81], v[10:11], 3, v[100:101]
	v_lshl_add_u64 v[68:69], v[16:17], 3, v[100:101]
	;; [unrolled: 1-line block ×4, first 2 shown]
	v_pk_add_f32 v[36:37], v[40:41], v[94:95]
	v_pk_add_f32 v[26:27], v[40:41], v[94:95] neg_lo:[0,1] neg_hi:[0,1]
	v_mad_u64_u32 v[34:35], s[0:1], s17, v1, v[34:35]
	v_lshl_add_u64 v[74:75], v[6:7], 3, v[100:101]
	v_lshl_add_u64 v[76:77], v[12:13], 3, v[100:101]
	;; [unrolled: 1-line block ×5, first 2 shown]
	v_mov_b32_e32 v37, v26
	v_pk_add_f32 v[40:41], v[48:49], v[92:93]
	v_pk_add_f32 v[26:27], v[48:49], v[92:93] neg_lo:[0,1] neg_hi:[0,1]
	v_pk_add_f32 v[46:47], v[50:51], v[58:59]
	v_pk_add_f32 v[28:29], v[50:51], v[58:59] neg_lo:[0,1] neg_hi:[0,1]
	v_mov_b32_e32 v103, v34
	v_lshl_add_u64 v[34:35], v[18:19], 3, v[100:101]
	v_lshl_add_u64 v[18:19], v[44:45], 3, v[100:101]
	v_mov_b32_e32 v41, v26
	v_pk_add_f32 v[48:49], v[24:25], v[62:63] op_sel:[0,1] neg_lo:[0,1] neg_hi:[0,1]
	v_pk_add_f32 v[26:27], v[24:25], v[62:63] op_sel_hi:[0,1]
	v_pk_add_f32 v[44:45], v[24:25], v[84:85] neg_lo:[0,1] neg_hi:[0,1]
	v_pk_add_f32 v[24:25], v[24:25], v[84:85]
	v_mov_b32_e32 v47, v28
	v_pk_add_f32 v[50:51], v[30:31], v[56:57]
	v_pk_add_f32 v[28:29], v[30:31], v[56:57] neg_lo:[0,1] neg_hi:[0,1]
	v_lshl_add_u64 v[72:73], v[14:15], 3, v[100:101]
	v_lshl_add_u64 v[14:15], v[32:33], 3, v[100:101]
	v_mov_b32_e32 v51, v28
	v_pk_add_f32 v[56:57], v[60:61], v[52:53] op_sel:[0,1] neg_lo:[0,1] neg_hi:[0,1]
	v_pk_add_f32 v[30:31], v[60:61], v[52:53] op_sel_hi:[0,1]
	v_pk_add_f32 v[52:53], v[60:61], v[54:55] neg_lo:[0,1] neg_hi:[0,1]
	v_pk_add_f32 v[28:29], v[60:61], v[54:55]
	v_pk_add_f32 v[54:55], v[42:43], v[86:87]
	v_pk_add_f32 v[32:33], v[42:43], v[86:87] neg_lo:[0,1] neg_hi:[0,1]
	v_mov_b32_e32 v24, v43
	v_mov_b32_e32 v26, v43
	v_pk_add_f32 v[60:61], v[38:39], v[90:91]
	v_pk_add_f32 v[42:43], v[38:39], v[90:91] neg_lo:[0,1] neg_hi:[0,1]
	v_mov_b32_e32 v55, v32
	v_pk_add_f32 v[58:59], v[24:25], v[64:65] op_sel:[0,1] neg_lo:[0,1] neg_hi:[0,1]
	v_pk_add_f32 v[32:33], v[26:27], v[64:65] op_sel_hi:[0,1]
	v_mov_b32_e32 v61, v42
	v_mov_b32_e32 v24, v39
	;; [unrolled: 1-line block ×3, first 2 shown]
	v_pk_add_f32 v[64:65], v[98:99], v[88:89]
	v_pk_add_f32 v[42:43], v[98:99], v[88:89] neg_lo:[0,1] neg_hi:[0,1]
	v_pk_add_f32 v[62:63], v[24:25], v[66:67] op_sel:[0,1] neg_lo:[0,1] neg_hi:[0,1]
	v_pk_add_f32 v[38:39], v[26:27], v[66:67] op_sel_hi:[0,1]
	v_mov_b32_e32 v65, v42
	v_pk_add_f32 v[66:67], v[96:97], v[82:83] neg_lo:[0,1] neg_hi:[0,1]
	v_pk_add_f32 v[42:43], v[96:97], v[82:83]
	v_pk_mul_f32 v[82:83], v[4:5], s[18:19]
	v_mov_b32_e32 v26, v48
	v_mov_b32_e32 v1, v70
	v_pk_fma_f32 v[70:71], v[2:3], s[14:15], v[82:83] neg_lo:[1,0,0] neg_hi:[1,0,0]
	v_pk_fma_f32 v[84:85], v[2:3], s[14:15], v[82:83]
	v_pk_mul_f32 v[86:87], v[36:37], s[36:37]
	v_mov_b32_e32 v71, v85
	v_pk_fma_f32 v[88:89], v[48:49], s[24:25], v[86:87] neg_lo:[1,0,0] neg_hi:[1,0,0]
	v_pk_fma_f32 v[90:91], v[26:27], s[24:25], v[86:87]
	v_pk_add_f32 v[70:71], v[0:1], v[70:71]
	v_mov_b32_e32 v89, v91
	v_pk_add_f32 v[70:71], v[70:71], v[88:89]
	v_mov_b32_e32 v24, v45
	v_pk_mul_f32 v[88:89], v[40:41], s[46:47]
	v_mov_b32_e32 v30, v56
	v_pk_fma_f32 v[92:93], v[44:45], s[42:43], v[88:89] op_sel:[1,0,0] neg_lo:[1,0,0] neg_hi:[1,0,0]
	v_pk_fma_f32 v[94:95], v[24:25], s[42:43], v[88:89]
	v_mov_b32_e32 v28, v53
	v_mov_b32_e32 v93, v95
	v_pk_add_f32 v[70:71], v[70:71], v[92:93]
	v_pk_mul_f32 v[92:93], v[46:47], s[34:35]
	s_mov_b32 s0, s7
	v_pk_fma_f32 v[96:97], v[56:57], s[20:21], v[92:93] neg_lo:[1,0,0] neg_hi:[1,0,0]
	v_pk_fma_f32 v[98:99], v[30:31], s[20:21], v[92:93]
	s_mov_b32 s1, s6
	v_mov_b32_e32 v97, v99
	v_pk_add_f32 v[70:71], v[70:71], v[96:97]
	v_pk_mul_f32 v[96:97], v[50:51], s[6:7]
	v_lshl_add_u64 v[78:79], v[8:9], 3, v[100:101]
	v_lshl_add_u64 v[8:9], v[22:23], 3, v[100:101]
	;; [unrolled: 1-line block ×3, first 2 shown]
	v_pk_fma_f32 v[100:101], v[52:53], s[0:1], v[96:97] op_sel:[1,0,0] neg_lo:[1,0,0] neg_hi:[1,0,0]
	v_pk_fma_f32 v[102:103], v[28:29], s[0:1], v[96:97]
	v_mov_b32_e32 v32, v58
	v_mov_b32_e32 v101, v103
	v_pk_add_f32 v[70:71], v[70:71], v[100:101]
	v_pk_mul_f32 v[100:101], v[54:55], s[10:11]
	v_pk_fma_f32 v[82:83], v[2:3], s[14:15], v[82:83] neg_lo:[0,0,1] neg_hi:[0,0,1]
	v_pk_fma_f32 v[104:105], v[58:59], s[2:3], v[100:101] neg_lo:[1,0,0] neg_hi:[1,0,0]
	v_pk_fma_f32 v[106:107], v[32:33], s[2:3], v[100:101]
	v_mov_b32_e32 v85, v83
	v_pk_fma_f32 v[82:83], v[26:27], s[24:25], v[86:87] neg_lo:[0,0,1] neg_hi:[0,0,1]
	v_mov_b32_e32 v105, v107
	v_mov_b32_e32 v91, v83
	v_pk_add_f32 v[82:83], v[0:1], v[84:85]
	v_pk_fma_f32 v[84:85], v[24:25], s[42:43], v[88:89] neg_lo:[0,0,1] neg_hi:[0,0,1]
	v_pk_add_f32 v[70:71], v[70:71], v[104:105]
	v_mov_b32_e32 v38, v62
	v_pk_mul_f32 v[104:105], v[60:61], s[12:13]
	v_pk_add_f32 v[82:83], v[82:83], v[90:91]
	v_mov_b32_e32 v95, v85
	v_pk_fma_f32 v[84:85], v[30:31], s[20:21], v[92:93] neg_lo:[0,0,1] neg_hi:[0,0,1]
	v_pk_fma_f32 v[108:109], v[62:63], s[4:5], v[104:105] neg_lo:[1,0,0] neg_hi:[1,0,0]
	v_pk_fma_f32 v[110:111], v[38:39], s[4:5], v[104:105]
	s_mov_b32 s16, 0xbf7ba420
	v_pk_add_f32 v[82:83], v[82:83], v[94:95]
	v_mov_b32_e32 v99, v85
	v_pk_fma_f32 v[84:85], v[28:29], s[0:1], v[96:97] neg_lo:[0,0,1] neg_hi:[0,0,1]
	v_mov_b32_e32 v109, v111
	s_mov_b32 s17, 0xbe3c28d5
	v_pk_add_f32 v[82:83], v[82:83], v[98:99]
	v_mov_b32_e32 v103, v85
	v_pk_fma_f32 v[84:85], v[32:33], s[2:3], v[100:101] neg_lo:[0,0,1] neg_hi:[0,0,1]
	v_pk_add_f32 v[70:71], v[70:71], v[108:109]
	v_mov_b32_e32 v42, v67
	s_mov_b32 s8, s17
	s_mov_b32 s9, s16
	v_pk_mul_f32 v[108:109], v[64:65], s[16:17]
	v_pk_add_f32 v[82:83], v[82:83], v[102:103]
	v_mov_b32_e32 v107, v85
	v_pk_fma_f32 v[84:85], v[38:39], s[4:5], v[104:105] neg_lo:[0,0,1] neg_hi:[0,0,1]
	v_pk_fma_f32 v[112:113], v[66:67], s[8:9], v[108:109] op_sel:[1,0,0] neg_lo:[1,0,0] neg_hi:[1,0,0]
	v_pk_fma_f32 v[114:115], v[42:43], s[8:9], v[108:109]
	v_pk_add_f32 v[82:83], v[82:83], v[106:107]
	v_mov_b32_e32 v111, v85
	v_pk_fma_f32 v[84:85], v[42:43], s[8:9], v[108:109] neg_lo:[0,0,1] neg_hi:[0,0,1]
	v_mov_b32_e32 v113, v115
	v_pk_add_f32 v[82:83], v[82:83], v[110:111]
	v_mov_b32_e32 v115, v85
	v_pk_add_f32 v[82:83], v[82:83], v[114:115]
	global_store_dwordx2 v[74:75], v[82:83], off
	v_pk_mul_f32 v[82:83], v[4:5], s[36:37]
	v_pk_mul_f32 v[86:87], v[36:37], s[34:35]
	v_pk_fma_f32 v[74:75], v[2:3], s[24:25], v[82:83] neg_lo:[1,0,0] neg_hi:[1,0,0]
	v_pk_fma_f32 v[84:85], v[2:3], s[24:25], v[82:83]
	v_pk_fma_f32 v[88:89], v[48:49], s[20:21], v[86:87] neg_lo:[1,0,0] neg_hi:[1,0,0]
	v_mov_b32_e32 v75, v85
	v_pk_fma_f32 v[90:91], v[26:27], s[20:21], v[86:87]
	v_pk_add_f32 v[74:75], v[0:1], v[74:75]
	v_mov_b32_e32 v89, v91
	v_pk_add_f32 v[74:75], v[74:75], v[88:89]
	v_pk_mul_f32 v[88:89], v[40:41], s[10:11]
	v_pk_fma_f32 v[82:83], v[2:3], s[24:25], v[82:83] neg_lo:[0,0,1] neg_hi:[0,0,1]
	v_pk_fma_f32 v[92:93], v[44:45], s[2:3], v[88:89] op_sel:[1,0,0] neg_lo:[1,0,0] neg_hi:[1,0,0]
	v_pk_fma_f32 v[94:95], v[24:25], s[2:3], v[88:89]
	v_mov_b32_e32 v85, v83
	v_mov_b32_e32 v93, v95
	v_pk_add_f32 v[74:75], v[74:75], v[92:93]
	v_pk_mul_f32 v[92:93], v[46:47], s[16:17]
	v_pk_fma_f32 v[82:83], v[26:27], s[20:21], v[86:87] neg_lo:[0,0,1] neg_hi:[0,0,1]
	v_pk_fma_f32 v[96:97], v[56:57], s[8:9], v[92:93] neg_lo:[1,0,0] neg_hi:[1,0,0]
	v_pk_fma_f32 v[98:99], v[30:31], s[8:9], v[92:93]
	v_mov_b32_e32 v91, v83
	v_mov_b32_e32 v97, v99
	v_pk_add_f32 v[74:75], v[74:75], v[96:97]
	v_pk_mul_f32 v[96:97], v[50:51], s[52:53]
	v_pk_add_f32 v[82:83], v[0:1], v[84:85]
	v_pk_fma_f32 v[100:101], v[52:53], s[50:51], v[96:97] op_sel:[1,0,0] neg_lo:[1,0,0] neg_hi:[1,0,0]
	v_pk_fma_f32 v[102:103], v[28:29], s[50:51], v[96:97]
	v_pk_fma_f32 v[84:85], v[24:25], s[2:3], v[88:89] neg_lo:[0,0,1] neg_hi:[0,0,1]
	v_mov_b32_e32 v101, v103
	v_pk_add_f32 v[74:75], v[74:75], v[100:101]
	v_pk_mul_f32 v[100:101], v[54:55], s[48:49]
	v_pk_add_f32 v[82:83], v[82:83], v[90:91]
	v_pk_fma_f32 v[104:105], v[58:59], s[44:45], v[100:101] neg_lo:[1,0,0] neg_hi:[1,0,0]
	v_pk_fma_f32 v[106:107], v[32:33], s[44:45], v[100:101]
	v_mov_b32_e32 v95, v85
	v_mov_b32_e32 v105, v107
	v_pk_add_f32 v[74:75], v[74:75], v[104:105]
	v_pk_mul_f32 v[104:105], v[60:61], s[28:29]
	v_pk_fma_f32 v[84:85], v[30:31], s[8:9], v[92:93] neg_lo:[0,0,1] neg_hi:[0,0,1]
	v_pk_fma_f32 v[108:109], v[62:63], s[22:23], v[104:105] neg_lo:[1,0,0] neg_hi:[1,0,0]
	v_pk_fma_f32 v[110:111], v[38:39], s[22:23], v[104:105]
	v_pk_add_f32 v[82:83], v[82:83], v[94:95]
	v_mov_b32_e32 v99, v85
	v_pk_fma_f32 v[84:85], v[28:29], s[50:51], v[96:97] neg_lo:[0,0,1] neg_hi:[0,0,1]
	v_mov_b32_e32 v109, v111
	v_pk_add_f32 v[82:83], v[82:83], v[98:99]
	v_mov_b32_e32 v103, v85
	v_pk_fma_f32 v[84:85], v[32:33], s[44:45], v[100:101] neg_lo:[0,0,1] neg_hi:[0,0,1]
	v_pk_add_f32 v[74:75], v[74:75], v[108:109]
	v_pk_mul_f32 v[108:109], v[64:65], s[30:31]
	v_pk_add_f32 v[82:83], v[82:83], v[102:103]
	v_mov_b32_e32 v107, v85
	v_pk_fma_f32 v[84:85], v[38:39], s[22:23], v[104:105] neg_lo:[0,0,1] neg_hi:[0,0,1]
	v_pk_add_f32 v[70:71], v[70:71], v[112:113]
	v_pk_fma_f32 v[112:113], v[66:67], s[26:27], v[108:109] op_sel:[1,0,0] neg_lo:[1,0,0] neg_hi:[1,0,0]
	v_pk_fma_f32 v[114:115], v[42:43], s[26:27], v[108:109]
	v_pk_add_f32 v[82:83], v[82:83], v[106:107]
	v_mov_b32_e32 v111, v85
	v_pk_fma_f32 v[84:85], v[42:43], s[26:27], v[108:109] neg_lo:[0,0,1] neg_hi:[0,0,1]
	v_mov_b32_e32 v113, v115
	v_pk_add_f32 v[82:83], v[82:83], v[110:111]
	v_mov_b32_e32 v115, v85
	v_pk_add_f32 v[82:83], v[82:83], v[114:115]
	global_store_dwordx2 v[78:79], v[82:83], off
	v_pk_mul_f32 v[82:83], v[4:5], s[46:47]
	v_pk_mul_f32 v[86:87], v[36:37], s[10:11]
	v_pk_fma_f32 v[78:79], v[2:3], s[42:43], v[82:83] neg_lo:[1,0,0] neg_hi:[1,0,0]
	v_pk_fma_f32 v[84:85], v[2:3], s[42:43], v[82:83]
	v_pk_fma_f32 v[88:89], v[48:49], s[2:3], v[86:87] neg_lo:[1,0,0] neg_hi:[1,0,0]
	v_mov_b32_e32 v79, v85
	v_pk_fma_f32 v[90:91], v[26:27], s[2:3], v[86:87]
	v_pk_add_f32 v[78:79], v[0:1], v[78:79]
	v_mov_b32_e32 v89, v91
	s_mov_b32 s38, s16
	v_pk_add_f32 v[78:79], v[78:79], v[88:89]
	s_mov_b32 s55, s16
	v_pk_mul_f32 v[88:89], v[40:41], s[38:39]
	s_mov_b32 s38, s41
	v_pk_fma_f32 v[92:93], v[44:45], s[54:55], v[88:89] op_sel:[1,0,0] neg_lo:[1,0,0] neg_hi:[1,0,0]
	v_pk_fma_f32 v[94:95], v[24:25], s[54:55], v[88:89]
	s_mov_b32 s39, s36
	v_mov_b32_e32 v93, v95
	v_pk_add_f32 v[78:79], v[78:79], v[92:93]
	v_pk_mul_f32 v[92:93], v[46:47], s[48:49]
	v_pk_fma_f32 v[82:83], v[2:3], s[42:43], v[82:83] neg_lo:[0,0,1] neg_hi:[0,0,1]
	v_pk_fma_f32 v[96:97], v[56:57], s[44:45], v[92:93] neg_lo:[1,0,0] neg_hi:[1,0,0]
	v_pk_fma_f32 v[98:99], v[30:31], s[44:45], v[92:93]
	v_mov_b32_e32 v85, v83
	v_mov_b32_e32 v97, v99
	v_pk_add_f32 v[78:79], v[78:79], v[96:97]
	v_pk_mul_f32 v[96:97], v[50:51], s[40:41]
	v_pk_fma_f32 v[82:83], v[26:27], s[2:3], v[86:87] neg_lo:[0,0,1] neg_hi:[0,0,1]
	v_pk_fma_f32 v[100:101], v[52:53], s[38:39], v[96:97] op_sel:[1,0,0] neg_lo:[1,0,0] neg_hi:[1,0,0]
	v_pk_fma_f32 v[102:103], v[28:29], s[38:39], v[96:97]
	v_mov_b32_e32 v91, v83
	v_mov_b32_e32 v101, v103
	v_pk_add_f32 v[78:79], v[78:79], v[100:101]
	v_pk_mul_f32 v[100:101], v[54:55], s[18:19]
	v_pk_add_f32 v[82:83], v[0:1], v[84:85]
	v_pk_fma_f32 v[104:105], v[58:59], s[14:15], v[100:101] neg_lo:[1,0,0] neg_hi:[1,0,0]
	v_pk_fma_f32 v[106:107], v[32:33], s[14:15], v[100:101]
	v_pk_fma_f32 v[84:85], v[24:25], s[54:55], v[88:89] neg_lo:[0,0,1] neg_hi:[0,0,1]
	v_mov_b32_e32 v105, v107
	v_pk_add_f32 v[78:79], v[78:79], v[104:105]
	v_pk_mul_f32 v[104:105], v[60:61], s[34:35]
	v_pk_add_f32 v[82:83], v[82:83], v[90:91]
	v_mov_b32_e32 v95, v85
	v_pk_fma_f32 v[84:85], v[30:31], s[44:45], v[92:93] neg_lo:[0,0,1] neg_hi:[0,0,1]
	v_pk_fma_f32 v[108:109], v[62:63], s[20:21], v[104:105] neg_lo:[1,0,0] neg_hi:[1,0,0]
	v_pk_fma_f32 v[110:111], v[38:39], s[20:21], v[104:105]
	v_pk_add_f32 v[82:83], v[82:83], v[94:95]
	v_mov_b32_e32 v99, v85
	v_pk_fma_f32 v[84:85], v[28:29], s[38:39], v[96:97] neg_lo:[0,0,1] neg_hi:[0,0,1]
	v_mov_b32_e32 v109, v111
	v_pk_add_f32 v[82:83], v[82:83], v[98:99]
	v_mov_b32_e32 v103, v85
	v_pk_fma_f32 v[84:85], v[32:33], s[14:15], v[100:101] neg_lo:[0,0,1] neg_hi:[0,0,1]
	v_pk_add_f32 v[78:79], v[78:79], v[108:109]
	v_pk_mul_f32 v[108:109], v[64:65], s[12:13]
	v_pk_add_f32 v[82:83], v[82:83], v[102:103]
	v_mov_b32_e32 v107, v85
	v_pk_fma_f32 v[84:85], v[38:39], s[20:21], v[104:105] neg_lo:[0,0,1] neg_hi:[0,0,1]
	v_pk_add_f32 v[74:75], v[74:75], v[112:113]
	v_pk_fma_f32 v[112:113], v[66:67], s[4:5], v[108:109] op_sel:[1,0,0] neg_lo:[1,0,0] neg_hi:[1,0,0]
	v_pk_fma_f32 v[114:115], v[42:43], s[4:5], v[108:109]
	v_pk_add_f32 v[82:83], v[82:83], v[106:107]
	v_mov_b32_e32 v111, v85
	v_pk_fma_f32 v[84:85], v[42:43], s[4:5], v[108:109] neg_lo:[0,0,1] neg_hi:[0,0,1]
	v_mov_b32_e32 v113, v115
	v_pk_add_f32 v[82:83], v[82:83], v[110:111]
	v_mov_b32_e32 v115, v85
	v_pk_add_f32 v[82:83], v[82:83], v[114:115]
	global_store_dwordx2 v[80:81], v[82:83], off
	v_pk_mul_f32 v[82:83], v[4:5], s[34:35]
	v_pk_mul_f32 v[86:87], v[36:37], s[16:17]
	v_pk_fma_f32 v[80:81], v[2:3], s[20:21], v[82:83] neg_lo:[1,0,0] neg_hi:[1,0,0]
	v_pk_fma_f32 v[84:85], v[2:3], s[20:21], v[82:83]
	v_pk_fma_f32 v[88:89], v[48:49], s[8:9], v[86:87] neg_lo:[1,0,0] neg_hi:[1,0,0]
	v_mov_b32_e32 v81, v85
	v_pk_fma_f32 v[90:91], v[26:27], s[8:9], v[86:87]
	v_pk_add_f32 v[80:81], v[0:1], v[80:81]
	v_mov_b32_e32 v89, v91
	v_pk_add_f32 v[80:81], v[80:81], v[88:89]
	v_pk_mul_f32 v[88:89], v[40:41], s[48:49]
	v_pk_fma_f32 v[82:83], v[2:3], s[20:21], v[82:83] neg_lo:[0,0,1] neg_hi:[0,0,1]
	v_pk_fma_f32 v[92:93], v[44:45], s[44:45], v[88:89] op_sel:[1,0,0] neg_lo:[1,0,0] neg_hi:[1,0,0]
	v_pk_fma_f32 v[94:95], v[24:25], s[44:45], v[88:89]
	v_mov_b32_e32 v85, v83
	v_mov_b32_e32 v93, v95
	v_pk_add_f32 v[80:81], v[80:81], v[92:93]
	v_pk_mul_f32 v[92:93], v[46:47], s[30:31]
	v_pk_fma_f32 v[82:83], v[26:27], s[8:9], v[86:87] neg_lo:[0,0,1] neg_hi:[0,0,1]
	v_pk_fma_f32 v[96:97], v[56:57], s[26:27], v[92:93] neg_lo:[1,0,0] neg_hi:[1,0,0]
	v_pk_fma_f32 v[98:99], v[30:31], s[26:27], v[92:93]
	v_mov_b32_e32 v91, v83
	v_mov_b32_e32 v97, v99
	v_pk_add_f32 v[80:81], v[80:81], v[96:97]
	v_pk_mul_f32 v[96:97], v[50:51], s[46:47]
	v_pk_add_f32 v[82:83], v[0:1], v[84:85]
	v_pk_fma_f32 v[100:101], v[52:53], s[42:43], v[96:97] op_sel:[1,0,0] neg_lo:[1,0,0] neg_hi:[1,0,0]
	v_pk_fma_f32 v[102:103], v[28:29], s[42:43], v[96:97]
	v_pk_fma_f32 v[84:85], v[24:25], s[44:45], v[88:89] neg_lo:[0,0,1] neg_hi:[0,0,1]
	v_mov_b32_e32 v101, v103
	v_pk_add_f32 v[80:81], v[80:81], v[100:101]
	v_pk_mul_f32 v[100:101], v[54:55], s[12:13]
	s_mov_b32 s54, s57
	v_pk_fma_f32 v[104:105], v[58:59], s[4:5], v[100:101] neg_lo:[1,0,0] neg_hi:[1,0,0]
	v_pk_fma_f32 v[106:107], v[32:33], s[4:5], v[100:101]
	s_mov_b32 s55, s10
	v_mov_b32_e32 v105, v107
	v_pk_add_f32 v[80:81], v[80:81], v[104:105]
	v_pk_mul_f32 v[104:105], v[60:61], s[56:57]
	v_pk_add_f32 v[82:83], v[82:83], v[90:91]
	v_mov_b32_e32 v95, v85
	v_pk_fma_f32 v[84:85], v[30:31], s[26:27], v[92:93] neg_lo:[0,0,1] neg_hi:[0,0,1]
	v_pk_fma_f32 v[108:109], v[62:63], s[54:55], v[104:105] neg_lo:[1,0,0] neg_hi:[1,0,0]
	v_pk_fma_f32 v[110:111], v[38:39], s[54:55], v[104:105]
	v_pk_add_f32 v[82:83], v[82:83], v[94:95]
	v_mov_b32_e32 v99, v85
	v_pk_fma_f32 v[84:85], v[28:29], s[42:43], v[96:97] neg_lo:[0,0,1] neg_hi:[0,0,1]
	v_mov_b32_e32 v109, v111
	v_pk_add_f32 v[82:83], v[82:83], v[98:99]
	v_mov_b32_e32 v103, v85
	v_pk_fma_f32 v[84:85], v[32:33], s[4:5], v[100:101] neg_lo:[0,0,1] neg_hi:[0,0,1]
	v_pk_add_f32 v[80:81], v[80:81], v[108:109]
	v_pk_mul_f32 v[108:109], v[64:65], s[40:41]
	v_pk_add_f32 v[82:83], v[82:83], v[102:103]
	v_mov_b32_e32 v107, v85
	v_pk_fma_f32 v[84:85], v[38:39], s[54:55], v[104:105] neg_lo:[0,0,1] neg_hi:[0,0,1]
	v_pk_add_f32 v[78:79], v[78:79], v[112:113]
	v_pk_fma_f32 v[112:113], v[66:67], s[38:39], v[108:109] op_sel:[1,0,0] neg_lo:[1,0,0] neg_hi:[1,0,0]
	v_pk_fma_f32 v[114:115], v[42:43], s[38:39], v[108:109]
	v_pk_add_f32 v[82:83], v[82:83], v[106:107]
	v_mov_b32_e32 v111, v85
	v_pk_fma_f32 v[84:85], v[42:43], s[38:39], v[108:109] neg_lo:[0,0,1] neg_hi:[0,0,1]
	v_mov_b32_e32 v113, v115
	v_pk_add_f32 v[82:83], v[82:83], v[110:111]
	v_mov_b32_e32 v115, v85
	v_pk_add_f32 v[82:83], v[82:83], v[114:115]
	global_store_dwordx2 v[76:77], v[82:83], off
	v_pk_mul_f32 v[82:83], v[4:5], s[6:7]
	v_pk_mul_f32 v[86:87], v[36:37], s[52:53]
	v_pk_fma_f32 v[76:77], v[2:3], s[0:1], v[82:83] neg_lo:[1,0,0] neg_hi:[1,0,0]
	v_pk_fma_f32 v[84:85], v[2:3], s[0:1], v[82:83]
	v_pk_fma_f32 v[88:89], v[48:49], s[50:51], v[86:87] neg_lo:[1,0,0] neg_hi:[1,0,0]
	v_mov_b32_e32 v77, v85
	v_pk_fma_f32 v[90:91], v[26:27], s[50:51], v[86:87]
	v_pk_add_f32 v[76:77], v[0:1], v[76:77]
	v_mov_b32_e32 v89, v91
	v_pk_add_f32 v[76:77], v[76:77], v[88:89]
	v_pk_mul_f32 v[88:89], v[40:41], s[40:41]
	s_mov_b32 s53, 0x3f7ee86f
	v_pk_fma_f32 v[92:93], v[44:45], s[38:39], v[88:89] op_sel:[1,0,0] neg_lo:[1,0,0] neg_hi:[1,0,0]
	v_pk_fma_f32 v[94:95], v[24:25], s[38:39], v[88:89]
	s_mov_b32 s52, s34
	v_mov_b32_e32 v93, v95
	v_pk_add_f32 v[76:77], v[76:77], v[92:93]
	v_pk_mul_f32 v[92:93], v[46:47], s[46:47]
	s_mov_b32 s46, s53
	v_pk_fma_f32 v[96:97], v[56:57], s[42:43], v[92:93] neg_lo:[1,0,0] neg_hi:[1,0,0]
	v_pk_fma_f32 v[98:99], v[30:31], s[42:43], v[92:93]
	s_mov_b32 s47, s34
	v_mov_b32_e32 v97, v99
	v_pk_add_f32 v[76:77], v[76:77], v[96:97]
	v_pk_mul_f32 v[96:97], v[50:51], s[16:17]
	v_pk_fma_f32 v[82:83], v[2:3], s[0:1], v[82:83] neg_lo:[0,0,1] neg_hi:[0,0,1]
	v_pk_fma_f32 v[100:101], v[52:53], s[8:9], v[96:97] op_sel:[1,0,0] neg_lo:[1,0,0] neg_hi:[1,0,0]
	v_pk_fma_f32 v[102:103], v[28:29], s[8:9], v[96:97]
	v_mov_b32_e32 v85, v83
	v_mov_b32_e32 v101, v103
	v_pk_add_f32 v[76:77], v[76:77], v[100:101]
	v_pk_mul_f32 v[100:101], v[54:55], s[52:53]
	v_pk_fma_f32 v[82:83], v[26:27], s[50:51], v[86:87] neg_lo:[0,0,1] neg_hi:[0,0,1]
	v_pk_fma_f32 v[104:105], v[58:59], s[46:47], v[100:101] neg_lo:[1,0,0] neg_hi:[1,0,0]
	v_pk_fma_f32 v[106:107], v[32:33], s[46:47], v[100:101]
	v_mov_b32_e32 v91, v83
	v_mov_b32_e32 v105, v107
	v_pk_add_f32 v[82:83], v[0:1], v[84:85]
	v_pk_fma_f32 v[84:85], v[24:25], s[38:39], v[88:89] neg_lo:[0,0,1] neg_hi:[0,0,1]
	v_pk_add_f32 v[76:77], v[76:77], v[104:105]
	v_pk_mul_f32 v[104:105], v[60:61], s[18:19]
	v_pk_add_f32 v[82:83], v[82:83], v[90:91]
	v_mov_b32_e32 v95, v85
	v_pk_fma_f32 v[84:85], v[30:31], s[42:43], v[92:93] neg_lo:[0,0,1] neg_hi:[0,0,1]
	v_pk_fma_f32 v[108:109], v[62:63], s[14:15], v[104:105] neg_lo:[1,0,0] neg_hi:[1,0,0]
	v_pk_fma_f32 v[110:111], v[38:39], s[14:15], v[104:105]
	v_pk_add_f32 v[82:83], v[82:83], v[94:95]
	v_mov_b32_e32 v99, v85
	v_pk_fma_f32 v[84:85], v[28:29], s[8:9], v[96:97] neg_lo:[0,0,1] neg_hi:[0,0,1]
	v_mov_b32_e32 v109, v111
	v_pk_add_f32 v[82:83], v[82:83], v[98:99]
	v_mov_b32_e32 v103, v85
	v_pk_fma_f32 v[84:85], v[32:33], s[46:47], v[100:101] neg_lo:[0,0,1] neg_hi:[0,0,1]
	v_pk_add_f32 v[76:77], v[76:77], v[108:109]
	v_pk_mul_f32 v[108:109], v[64:65], s[10:11]
	v_pk_add_f32 v[82:83], v[82:83], v[102:103]
	v_mov_b32_e32 v107, v85
	v_pk_fma_f32 v[84:85], v[38:39], s[14:15], v[104:105] neg_lo:[0,0,1] neg_hi:[0,0,1]
	v_pk_add_f32 v[80:81], v[80:81], v[112:113]
	v_pk_fma_f32 v[112:113], v[66:67], s[2:3], v[108:109] op_sel:[1,0,0] neg_lo:[1,0,0] neg_hi:[1,0,0]
	v_pk_fma_f32 v[114:115], v[42:43], s[2:3], v[108:109]
	v_pk_add_f32 v[82:83], v[82:83], v[106:107]
	v_mov_b32_e32 v111, v85
	v_pk_fma_f32 v[84:85], v[42:43], s[2:3], v[108:109] neg_lo:[0,0,1] neg_hi:[0,0,1]
	v_mov_b32_e32 v113, v115
	v_pk_add_f32 v[82:83], v[82:83], v[110:111]
	v_mov_b32_e32 v115, v85
	v_pk_add_f32 v[82:83], v[82:83], v[114:115]
	global_store_dwordx2 v[72:73], v[82:83], off
	v_pk_mul_f32 v[82:83], v[4:5], s[10:11]
	v_pk_mul_f32 v[86:87], v[36:37], s[48:49]
	v_pk_fma_f32 v[72:73], v[2:3], s[2:3], v[82:83] neg_lo:[1,0,0] neg_hi:[1,0,0]
	v_pk_fma_f32 v[84:85], v[2:3], s[2:3], v[82:83]
	v_pk_fma_f32 v[88:89], v[48:49], s[44:45], v[86:87] neg_lo:[1,0,0] neg_hi:[1,0,0]
	v_mov_b32_e32 v73, v85
	v_pk_fma_f32 v[90:91], v[26:27], s[44:45], v[86:87]
	v_pk_add_f32 v[72:73], v[0:1], v[72:73]
	v_mov_b32_e32 v89, v91
	v_pk_add_f32 v[72:73], v[72:73], v[88:89]
	v_pk_mul_f32 v[88:89], v[40:41], s[18:19]
	v_pk_fma_f32 v[82:83], v[2:3], s[2:3], v[82:83] neg_lo:[0,0,1] neg_hi:[0,0,1]
	v_pk_fma_f32 v[92:93], v[44:45], s[14:15], v[88:89] op_sel:[1,0,0] neg_lo:[1,0,0] neg_hi:[1,0,0]
	v_pk_fma_f32 v[94:95], v[24:25], s[14:15], v[88:89]
	v_mov_b32_e32 v85, v83
	v_mov_b32_e32 v93, v95
	v_pk_add_f32 v[72:73], v[72:73], v[92:93]
	v_pk_mul_f32 v[92:93], v[46:47], s[12:13]
	v_pk_fma_f32 v[82:83], v[26:27], s[44:45], v[86:87] neg_lo:[0,0,1] neg_hi:[0,0,1]
	v_pk_fma_f32 v[96:97], v[56:57], s[4:5], v[92:93] neg_lo:[1,0,0] neg_hi:[1,0,0]
	v_pk_fma_f32 v[98:99], v[30:31], s[4:5], v[92:93]
	v_mov_b32_e32 v91, v83
	v_mov_b32_e32 v97, v99
	v_pk_add_f32 v[72:73], v[72:73], v[96:97]
	v_pk_mul_f32 v[96:97], v[50:51], s[52:53]
	v_pk_add_f32 v[82:83], v[0:1], v[84:85]
	v_pk_fma_f32 v[100:101], v[52:53], s[46:47], v[96:97] op_sel:[1,0,0] neg_lo:[1,0,0] neg_hi:[1,0,0]
	v_pk_fma_f32 v[102:103], v[28:29], s[46:47], v[96:97]
	v_pk_fma_f32 v[84:85], v[24:25], s[14:15], v[88:89] neg_lo:[0,0,1] neg_hi:[0,0,1]
	v_mov_b32_e32 v101, v103
	v_pk_add_f32 v[72:73], v[72:73], v[100:101]
	v_pk_mul_f32 v[100:101], v[54:55], s[36:37]
	v_pk_add_f32 v[82:83], v[82:83], v[90:91]
	v_pk_fma_f32 v[104:105], v[58:59], s[24:25], v[100:101] neg_lo:[1,0,0] neg_hi:[1,0,0]
	v_pk_fma_f32 v[106:107], v[32:33], s[24:25], v[100:101]
	v_mov_b32_e32 v95, v85
	v_mov_b32_e32 v105, v107
	v_pk_add_f32 v[72:73], v[72:73], v[104:105]
	v_pk_mul_f32 v[104:105], v[60:61], s[16:17]
	v_pk_fma_f32 v[84:85], v[30:31], s[4:5], v[92:93] neg_lo:[0,0,1] neg_hi:[0,0,1]
	v_pk_fma_f32 v[108:109], v[62:63], s[8:9], v[104:105] neg_lo:[1,0,0] neg_hi:[1,0,0]
	v_pk_fma_f32 v[110:111], v[38:39], s[8:9], v[104:105]
	v_pk_add_f32 v[82:83], v[82:83], v[94:95]
	v_mov_b32_e32 v99, v85
	v_pk_fma_f32 v[84:85], v[28:29], s[46:47], v[96:97] neg_lo:[0,0,1] neg_hi:[0,0,1]
	v_mov_b32_e32 v109, v111
	v_pk_add_f32 v[82:83], v[82:83], v[98:99]
	v_mov_b32_e32 v103, v85
	v_pk_fma_f32 v[84:85], v[32:33], s[24:25], v[100:101] neg_lo:[0,0,1] neg_hi:[0,0,1]
	v_pk_add_f32 v[72:73], v[72:73], v[108:109]
	v_pk_mul_f32 v[108:109], v[64:65], s[28:29]
	v_pk_add_f32 v[82:83], v[82:83], v[102:103]
	v_mov_b32_e32 v107, v85
	v_pk_fma_f32 v[84:85], v[38:39], s[8:9], v[104:105] neg_lo:[0,0,1] neg_hi:[0,0,1]
	v_pk_add_f32 v[76:77], v[76:77], v[112:113]
	v_pk_fma_f32 v[112:113], v[66:67], s[22:23], v[108:109] op_sel:[1,0,0] neg_lo:[1,0,0] neg_hi:[1,0,0]
	v_pk_fma_f32 v[114:115], v[42:43], s[22:23], v[108:109]
	v_pk_add_f32 v[82:83], v[82:83], v[106:107]
	v_mov_b32_e32 v111, v85
	v_pk_fma_f32 v[84:85], v[42:43], s[22:23], v[108:109] neg_lo:[0,0,1] neg_hi:[0,0,1]
	v_mov_b32_e32 v113, v115
	v_pk_add_f32 v[82:83], v[82:83], v[110:111]
	v_mov_b32_e32 v115, v85
	v_pk_add_f32 v[82:83], v[82:83], v[114:115]
	global_store_dwordx2 v[68:69], v[82:83], off
	v_pk_mul_f32 v[82:83], v[4:5], s[12:13]
	v_pk_mul_f32 v[86:87], v[36:37], s[28:29]
	v_pk_fma_f32 v[68:69], v[2:3], s[4:5], v[82:83] neg_lo:[1,0,0] neg_hi:[1,0,0]
	v_pk_fma_f32 v[84:85], v[2:3], s[4:5], v[82:83]
	v_pk_fma_f32 v[88:89], v[48:49], s[22:23], v[86:87] neg_lo:[1,0,0] neg_hi:[1,0,0]
	v_mov_b32_e32 v69, v85
	v_pk_fma_f32 v[90:91], v[26:27], s[22:23], v[86:87]
	v_pk_add_f32 v[68:69], v[0:1], v[68:69]
	v_mov_b32_e32 v89, v91
	v_pk_add_f32 v[68:69], v[68:69], v[88:89]
	v_pk_mul_f32 v[88:89], v[40:41], s[34:35]
	v_pk_fma_f32 v[82:83], v[2:3], s[4:5], v[82:83] neg_lo:[0,0,1] neg_hi:[0,0,1]
	v_pk_fma_f32 v[92:93], v[44:45], s[20:21], v[88:89] op_sel:[1,0,0] neg_lo:[1,0,0] neg_hi:[1,0,0]
	v_pk_fma_f32 v[94:95], v[24:25], s[20:21], v[88:89]
	v_mov_b32_e32 v85, v83
	v_mov_b32_e32 v93, v95
	v_pk_add_f32 v[68:69], v[68:69], v[92:93]
	v_pk_mul_f32 v[92:93], v[46:47], s[56:57]
	v_pk_fma_f32 v[82:83], v[26:27], s[22:23], v[86:87] neg_lo:[0,0,1] neg_hi:[0,0,1]
	v_pk_fma_f32 v[96:97], v[56:57], s[54:55], v[92:93] neg_lo:[1,0,0] neg_hi:[1,0,0]
	v_pk_fma_f32 v[98:99], v[30:31], s[54:55], v[92:93]
	v_mov_b32_e32 v91, v83
	v_mov_b32_e32 v97, v99
	v_pk_add_f32 v[68:69], v[68:69], v[96:97]
	v_pk_mul_f32 v[96:97], v[50:51], s[18:19]
	v_pk_add_f32 v[82:83], v[0:1], v[84:85]
	v_pk_fma_f32 v[100:101], v[52:53], s[14:15], v[96:97] op_sel:[1,0,0] neg_lo:[1,0,0] neg_hi:[1,0,0]
	v_pk_fma_f32 v[102:103], v[28:29], s[14:15], v[96:97]
	v_pk_fma_f32 v[84:85], v[24:25], s[20:21], v[88:89] neg_lo:[0,0,1] neg_hi:[0,0,1]
	v_mov_b32_e32 v101, v103
	v_pk_add_f32 v[68:69], v[68:69], v[100:101]
	v_pk_mul_f32 v[100:101], v[54:55], s[16:17]
	v_pk_add_f32 v[82:83], v[82:83], v[90:91]
	v_pk_fma_f32 v[104:105], v[58:59], s[8:9], v[100:101] neg_lo:[1,0,0] neg_hi:[1,0,0]
	v_pk_fma_f32 v[106:107], v[32:33], s[8:9], v[100:101]
	v_mov_b32_e32 v95, v85
	v_mov_b32_e32 v105, v107
	v_pk_add_f32 v[68:69], v[68:69], v[104:105]
	v_pk_mul_f32 v[104:105], v[60:61], s[40:41]
	v_pk_fma_f32 v[84:85], v[30:31], s[54:55], v[92:93] neg_lo:[0,0,1] neg_hi:[0,0,1]
	v_pk_fma_f32 v[108:109], v[62:63], s[38:39], v[104:105] neg_lo:[1,0,0] neg_hi:[1,0,0]
	v_pk_fma_f32 v[110:111], v[38:39], s[38:39], v[104:105]
	v_pk_add_f32 v[82:83], v[82:83], v[94:95]
	v_mov_b32_e32 v99, v85
	v_pk_fma_f32 v[84:85], v[28:29], s[14:15], v[96:97] neg_lo:[0,0,1] neg_hi:[0,0,1]
	v_mov_b32_e32 v109, v111
	v_pk_add_f32 v[82:83], v[82:83], v[98:99]
	v_mov_b32_e32 v103, v85
	v_pk_fma_f32 v[84:85], v[32:33], s[8:9], v[100:101] neg_lo:[0,0,1] neg_hi:[0,0,1]
	v_pk_add_f32 v[68:69], v[68:69], v[108:109]
	v_pk_mul_f32 v[108:109], v[64:65], s[6:7]
	v_pk_add_f32 v[82:83], v[82:83], v[102:103]
	v_mov_b32_e32 v107, v85
	v_pk_fma_f32 v[84:85], v[38:39], s[38:39], v[104:105] neg_lo:[0,0,1] neg_hi:[0,0,1]
	v_pk_add_f32 v[72:73], v[72:73], v[112:113]
	v_pk_fma_f32 v[112:113], v[66:67], s[0:1], v[108:109] op_sel:[1,0,0] neg_lo:[1,0,0] neg_hi:[1,0,0]
	v_pk_fma_f32 v[114:115], v[42:43], s[0:1], v[108:109]
	v_pk_add_f32 v[82:83], v[82:83], v[106:107]
	v_mov_b32_e32 v111, v85
	v_pk_fma_f32 v[84:85], v[42:43], s[0:1], v[108:109] neg_lo:[0,0,1] neg_hi:[0,0,1]
	v_mov_b32_e32 v113, v115
	v_pk_add_f32 v[82:83], v[82:83], v[110:111]
	v_mov_b32_e32 v115, v85
	v_pk_add_f32 v[82:83], v[82:83], v[114:115]
	v_pk_mul_f32 v[4:5], v[4:5], s[16:17]
	global_store_dwordx2 v[34:35], v[82:83], off
	v_pk_fma_f32 v[34:35], v[2:3], s[8:9], v[4:5] neg_lo:[1,0,0] neg_hi:[1,0,0]
	v_pk_fma_f32 v[82:83], v[2:3], s[8:9], v[4:5]
	v_pk_mul_f32 v[36:37], v[36:37], s[30:31]
	v_mov_b32_e32 v35, v83
	v_pk_fma_f32 v[48:49], v[48:49], s[26:27], v[36:37] neg_lo:[1,0,0] neg_hi:[1,0,0]
	v_pk_fma_f32 v[84:85], v[26:27], s[26:27], v[36:37]
	v_pk_add_f32 v[34:35], v[0:1], v[34:35]
	v_mov_b32_e32 v49, v85
	v_pk_mul_f32 v[40:41], v[40:41], s[12:13]
	v_pk_add_f32 v[34:35], v[34:35], v[48:49]
	v_pk_fma_f32 v[44:45], v[44:45], s[4:5], v[40:41] op_sel:[1,0,0] neg_lo:[1,0,0] neg_hi:[1,0,0]
	v_pk_fma_f32 v[48:49], v[24:25], s[4:5], v[40:41]
	v_pk_fma_f32 v[2:3], v[2:3], s[8:9], v[4:5] neg_lo:[0,0,1] neg_hi:[0,0,1]
	v_mov_b32_e32 v45, v49
	v_pk_add_f32 v[34:35], v[34:35], v[44:45]
	v_pk_mul_f32 v[44:45], v[46:47], s[40:41]
	v_mov_b32_e32 v83, v3
	v_pk_fma_f32 v[46:47], v[56:57], s[38:39], v[44:45] neg_lo:[1,0,0] neg_hi:[1,0,0]
	v_pk_fma_f32 v[56:57], v[30:31], s[38:39], v[44:45]
	v_pk_fma_f32 v[2:3], v[26:27], s[26:27], v[36:37] neg_lo:[0,0,1] neg_hi:[0,0,1]
	v_mov_b32_e32 v47, v57
	v_pk_add_f32 v[34:35], v[34:35], v[46:47]
	v_pk_mul_f32 v[46:47], v[50:51], s[10:11]
	v_pk_add_f32 v[0:1], v[0:1], v[82:83]
	v_pk_fma_f32 v[50:51], v[52:53], s[2:3], v[46:47] op_sel:[1,0,0] neg_lo:[1,0,0] neg_hi:[1,0,0]
	v_pk_fma_f32 v[52:53], v[28:29], s[2:3], v[46:47]
	v_mov_b32_e32 v85, v3
	v_mov_b32_e32 v51, v53
	v_pk_add_f32 v[34:35], v[34:35], v[50:51]
	v_pk_mul_f32 v[50:51], v[54:55], s[28:29]
	v_pk_fma_f32 v[2:3], v[24:25], s[4:5], v[40:41] neg_lo:[0,0,1] neg_hi:[0,0,1]
	v_pk_fma_f32 v[54:55], v[58:59], s[22:23], v[50:51] neg_lo:[1,0,0] neg_hi:[1,0,0]
	v_pk_fma_f32 v[58:59], v[32:33], s[22:23], v[50:51]
	v_pk_add_f32 v[0:1], v[0:1], v[84:85]
	v_mov_b32_e32 v55, v59
	v_pk_add_f32 v[34:35], v[34:35], v[54:55]
	v_pk_mul_f32 v[54:55], v[60:61], s[6:7]
	v_mov_b32_e32 v49, v3
	v_pk_fma_f32 v[2:3], v[30:31], s[38:39], v[44:45] neg_lo:[0,0,1] neg_hi:[0,0,1]
	v_pk_fma_f32 v[60:61], v[62:63], s[0:1], v[54:55] neg_lo:[1,0,0] neg_hi:[1,0,0]
	v_pk_fma_f32 v[62:63], v[38:39], s[0:1], v[54:55]
	v_pk_add_f32 v[0:1], v[0:1], v[48:49]
	v_mov_b32_e32 v57, v3
	v_pk_fma_f32 v[2:3], v[28:29], s[2:3], v[46:47] neg_lo:[0,0,1] neg_hi:[0,0,1]
	v_mov_b32_e32 v61, v63
	v_pk_add_f32 v[0:1], v[0:1], v[56:57]
	v_mov_b32_e32 v53, v3
	v_pk_fma_f32 v[2:3], v[32:33], s[22:23], v[50:51] neg_lo:[0,0,1] neg_hi:[0,0,1]
	v_pk_add_f32 v[34:35], v[34:35], v[60:61]
	v_pk_mul_f32 v[60:61], v[64:65], s[52:53]
	v_pk_add_f32 v[0:1], v[0:1], v[52:53]
	v_mov_b32_e32 v59, v3
	v_pk_fma_f32 v[2:3], v[38:39], s[0:1], v[54:55] neg_lo:[0,0,1] neg_hi:[0,0,1]
	v_pk_fma_f32 v[64:65], v[66:67], s[46:47], v[60:61] op_sel:[1,0,0] neg_lo:[1,0,0] neg_hi:[1,0,0]
	v_pk_fma_f32 v[66:67], v[42:43], s[46:47], v[60:61]
	v_pk_add_f32 v[0:1], v[0:1], v[58:59]
	v_mov_b32_e32 v63, v3
	v_pk_fma_f32 v[2:3], v[42:43], s[46:47], v[60:61] neg_lo:[0,0,1] neg_hi:[0,0,1]
	v_mov_b32_e32 v65, v67
	v_pk_add_f32 v[0:1], v[0:1], v[62:63]
	v_mov_b32_e32 v67, v3
	v_pk_add_f32 v[0:1], v[0:1], v[66:67]
	v_pk_add_f32 v[68:69], v[68:69], v[112:113]
	;; [unrolled: 1-line block ×3, first 2 shown]
	global_store_dwordx2 v[6:7], v[0:1], off
	global_store_dwordx2 v[8:9], v[34:35], off
	;; [unrolled: 1-line block ×9, first 2 shown]
.LBB0_22:
	s_endpgm
	.section	.rodata,"a",@progbits
	.p2align	6, 0x0
	.amdhsa_kernel fft_rtc_back_len272_factors_16_17_wgs_119_tpt_17_halfLds_sp_op_CI_CI_sbrr_dirReg
		.amdhsa_group_segment_fixed_size 0
		.amdhsa_private_segment_fixed_size 0
		.amdhsa_kernarg_size 104
		.amdhsa_user_sgpr_count 2
		.amdhsa_user_sgpr_dispatch_ptr 0
		.amdhsa_user_sgpr_queue_ptr 0
		.amdhsa_user_sgpr_kernarg_segment_ptr 1
		.amdhsa_user_sgpr_dispatch_id 0
		.amdhsa_user_sgpr_kernarg_preload_length 0
		.amdhsa_user_sgpr_kernarg_preload_offset 0
		.amdhsa_user_sgpr_private_segment_size 0
		.amdhsa_uses_dynamic_stack 0
		.amdhsa_enable_private_segment 0
		.amdhsa_system_sgpr_workgroup_id_x 1
		.amdhsa_system_sgpr_workgroup_id_y 0
		.amdhsa_system_sgpr_workgroup_id_z 0
		.amdhsa_system_sgpr_workgroup_info 0
		.amdhsa_system_vgpr_workitem_id 0
		.amdhsa_next_free_vgpr 116
		.amdhsa_next_free_sgpr 58
		.amdhsa_accum_offset 116
		.amdhsa_reserve_vcc 1
		.amdhsa_float_round_mode_32 0
		.amdhsa_float_round_mode_16_64 0
		.amdhsa_float_denorm_mode_32 3
		.amdhsa_float_denorm_mode_16_64 3
		.amdhsa_dx10_clamp 1
		.amdhsa_ieee_mode 1
		.amdhsa_fp16_overflow 0
		.amdhsa_tg_split 0
		.amdhsa_exception_fp_ieee_invalid_op 0
		.amdhsa_exception_fp_denorm_src 0
		.amdhsa_exception_fp_ieee_div_zero 0
		.amdhsa_exception_fp_ieee_overflow 0
		.amdhsa_exception_fp_ieee_underflow 0
		.amdhsa_exception_fp_ieee_inexact 0
		.amdhsa_exception_int_div_zero 0
	.end_amdhsa_kernel
	.text
.Lfunc_end0:
	.size	fft_rtc_back_len272_factors_16_17_wgs_119_tpt_17_halfLds_sp_op_CI_CI_sbrr_dirReg, .Lfunc_end0-fft_rtc_back_len272_factors_16_17_wgs_119_tpt_17_halfLds_sp_op_CI_CI_sbrr_dirReg
                                        ; -- End function
	.section	.AMDGPU.csdata,"",@progbits
; Kernel info:
; codeLenInByte = 9800
; NumSgprs: 64
; NumVgprs: 116
; NumAgprs: 0
; TotalNumVgprs: 116
; ScratchSize: 0
; MemoryBound: 0
; FloatMode: 240
; IeeeMode: 1
; LDSByteSize: 0 bytes/workgroup (compile time only)
; SGPRBlocks: 7
; VGPRBlocks: 14
; NumSGPRsForWavesPerEU: 64
; NumVGPRsForWavesPerEU: 116
; AccumOffset: 116
; Occupancy: 4
; WaveLimiterHint : 1
; COMPUTE_PGM_RSRC2:SCRATCH_EN: 0
; COMPUTE_PGM_RSRC2:USER_SGPR: 2
; COMPUTE_PGM_RSRC2:TRAP_HANDLER: 0
; COMPUTE_PGM_RSRC2:TGID_X_EN: 1
; COMPUTE_PGM_RSRC2:TGID_Y_EN: 0
; COMPUTE_PGM_RSRC2:TGID_Z_EN: 0
; COMPUTE_PGM_RSRC2:TIDIG_COMP_CNT: 0
; COMPUTE_PGM_RSRC3_GFX90A:ACCUM_OFFSET: 28
; COMPUTE_PGM_RSRC3_GFX90A:TG_SPLIT: 0
	.text
	.p2alignl 6, 3212836864
	.fill 256, 4, 3212836864
	.type	__hip_cuid_2205d69f95407ef6,@object ; @__hip_cuid_2205d69f95407ef6
	.section	.bss,"aw",@nobits
	.globl	__hip_cuid_2205d69f95407ef6
__hip_cuid_2205d69f95407ef6:
	.byte	0                               ; 0x0
	.size	__hip_cuid_2205d69f95407ef6, 1

	.ident	"AMD clang version 19.0.0git (https://github.com/RadeonOpenCompute/llvm-project roc-6.4.0 25133 c7fe45cf4b819c5991fe208aaa96edf142730f1d)"
	.section	".note.GNU-stack","",@progbits
	.addrsig
	.addrsig_sym __hip_cuid_2205d69f95407ef6
	.amdgpu_metadata
---
amdhsa.kernels:
  - .agpr_count:     0
    .args:
      - .actual_access:  read_only
        .address_space:  global
        .offset:         0
        .size:           8
        .value_kind:     global_buffer
      - .offset:         8
        .size:           8
        .value_kind:     by_value
      - .actual_access:  read_only
        .address_space:  global
        .offset:         16
        .size:           8
        .value_kind:     global_buffer
      - .actual_access:  read_only
        .address_space:  global
        .offset:         24
        .size:           8
        .value_kind:     global_buffer
      - .actual_access:  read_only
        .address_space:  global
        .offset:         32
        .size:           8
        .value_kind:     global_buffer
      - .offset:         40
        .size:           8
        .value_kind:     by_value
      - .actual_access:  read_only
        .address_space:  global
        .offset:         48
        .size:           8
        .value_kind:     global_buffer
      - .actual_access:  read_only
        .address_space:  global
        .offset:         56
        .size:           8
        .value_kind:     global_buffer
      - .offset:         64
        .size:           4
        .value_kind:     by_value
      - .actual_access:  read_only
        .address_space:  global
        .offset:         72
        .size:           8
        .value_kind:     global_buffer
      - .actual_access:  read_only
        .address_space:  global
        .offset:         80
        .size:           8
        .value_kind:     global_buffer
      - .actual_access:  read_only
        .address_space:  global
        .offset:         88
        .size:           8
        .value_kind:     global_buffer
      - .actual_access:  write_only
        .address_space:  global
        .offset:         96
        .size:           8
        .value_kind:     global_buffer
    .group_segment_fixed_size: 0
    .kernarg_segment_align: 8
    .kernarg_segment_size: 104
    .language:       OpenCL C
    .language_version:
      - 2
      - 0
    .max_flat_workgroup_size: 119
    .name:           fft_rtc_back_len272_factors_16_17_wgs_119_tpt_17_halfLds_sp_op_CI_CI_sbrr_dirReg
    .private_segment_fixed_size: 0
    .sgpr_count:     64
    .sgpr_spill_count: 0
    .symbol:         fft_rtc_back_len272_factors_16_17_wgs_119_tpt_17_halfLds_sp_op_CI_CI_sbrr_dirReg.kd
    .uniform_work_group_size: 1
    .uses_dynamic_stack: false
    .vgpr_count:     116
    .vgpr_spill_count: 0
    .wavefront_size: 64
amdhsa.target:   amdgcn-amd-amdhsa--gfx950
amdhsa.version:
  - 1
  - 2
...

	.end_amdgpu_metadata
